;; amdgpu-corpus repo=ROCm/rocFFT kind=compiled arch=gfx1201 opt=O3
	.text
	.amdgcn_target "amdgcn-amd-amdhsa--gfx1201"
	.amdhsa_code_object_version 6
	.protected	fft_rtc_back_len3456_factors_6_6_6_4_4_wgs_144_tpt_144_halfLds_sp_op_CI_CI_unitstride_sbrr_dirReg ; -- Begin function fft_rtc_back_len3456_factors_6_6_6_4_4_wgs_144_tpt_144_halfLds_sp_op_CI_CI_unitstride_sbrr_dirReg
	.globl	fft_rtc_back_len3456_factors_6_6_6_4_4_wgs_144_tpt_144_halfLds_sp_op_CI_CI_unitstride_sbrr_dirReg
	.p2align	8
	.type	fft_rtc_back_len3456_factors_6_6_6_4_4_wgs_144_tpt_144_halfLds_sp_op_CI_CI_unitstride_sbrr_dirReg,@function
fft_rtc_back_len3456_factors_6_6_6_4_4_wgs_144_tpt_144_halfLds_sp_op_CI_CI_unitstride_sbrr_dirReg: ; @fft_rtc_back_len3456_factors_6_6_6_4_4_wgs_144_tpt_144_halfLds_sp_op_CI_CI_unitstride_sbrr_dirReg
; %bb.0:
	s_clause 0x2
	s_load_b128 s[8:11], s[0:1], 0x0
	s_load_b128 s[4:7], s[0:1], 0x58
	;; [unrolled: 1-line block ×3, first 2 shown]
	v_mul_u32_u24_e32 v1, 0x1c8, v0
	v_mov_b32_e32 v5, 0
	v_mov_b32_e32 v19, 0
	;; [unrolled: 1-line block ×3, first 2 shown]
	s_delay_alu instid0(VALU_DEP_4) | instskip(NEXT) | instid1(VALU_DEP_1)
	v_lshrrev_b32_e32 v1, 16, v1
	v_dual_mov_b32 v8, v5 :: v_dual_add_nc_u32 v7, ttmp9, v1
	s_wait_kmcnt 0x0
	v_cmp_lt_u64_e64 s2, s[10:11], 2
	s_delay_alu instid0(VALU_DEP_1)
	s_and_b32 vcc_lo, exec_lo, s2
	s_cbranch_vccnz .LBB0_8
; %bb.1:
	s_load_b64 s[2:3], s[0:1], 0x10
	v_mov_b32_e32 v19, 0
	v_mov_b32_e32 v20, 0
	s_delay_alu instid0(VALU_DEP_2)
	v_mov_b32_e32 v1, v19
	s_add_nc_u64 s[16:17], s[14:15], 8
	s_add_nc_u64 s[18:19], s[12:13], 8
	s_mov_b64 s[20:21], 1
	v_mov_b32_e32 v2, v20
	s_wait_kmcnt 0x0
	s_add_nc_u64 s[22:23], s[2:3], 8
	s_mov_b32 s3, 0
.LBB0_2:                                ; =>This Inner Loop Header: Depth=1
	s_load_b64 s[24:25], s[22:23], 0x0
                                        ; implicit-def: $vgpr3_vgpr4
	s_mov_b32 s2, exec_lo
	s_wait_kmcnt 0x0
	v_or_b32_e32 v6, s25, v8
	s_delay_alu instid0(VALU_DEP_1)
	v_cmpx_ne_u64_e32 0, v[5:6]
	s_wait_alu 0xfffe
	s_xor_b32 s26, exec_lo, s2
	s_cbranch_execz .LBB0_4
; %bb.3:                                ;   in Loop: Header=BB0_2 Depth=1
	s_cvt_f32_u32 s2, s24
	s_cvt_f32_u32 s27, s25
	s_sub_nc_u64 s[30:31], 0, s[24:25]
	s_wait_alu 0xfffe
	s_delay_alu instid0(SALU_CYCLE_1) | instskip(SKIP_1) | instid1(SALU_CYCLE_2)
	s_fmamk_f32 s2, s27, 0x4f800000, s2
	s_wait_alu 0xfffe
	v_s_rcp_f32 s2, s2
	s_delay_alu instid0(TRANS32_DEP_1) | instskip(SKIP_1) | instid1(SALU_CYCLE_2)
	s_mul_f32 s2, s2, 0x5f7ffffc
	s_wait_alu 0xfffe
	s_mul_f32 s27, s2, 0x2f800000
	s_wait_alu 0xfffe
	s_delay_alu instid0(SALU_CYCLE_2) | instskip(SKIP_1) | instid1(SALU_CYCLE_2)
	s_trunc_f32 s27, s27
	s_wait_alu 0xfffe
	s_fmamk_f32 s2, s27, 0xcf800000, s2
	s_cvt_u32_f32 s29, s27
	s_wait_alu 0xfffe
	s_delay_alu instid0(SALU_CYCLE_1) | instskip(SKIP_1) | instid1(SALU_CYCLE_2)
	s_cvt_u32_f32 s28, s2
	s_wait_alu 0xfffe
	s_mul_u64 s[34:35], s[30:31], s[28:29]
	s_wait_alu 0xfffe
	s_mul_hi_u32 s37, s28, s35
	s_mul_i32 s36, s28, s35
	s_mul_hi_u32 s2, s28, s34
	s_mul_i32 s33, s29, s34
	s_wait_alu 0xfffe
	s_add_nc_u64 s[36:37], s[2:3], s[36:37]
	s_mul_hi_u32 s27, s29, s34
	s_mul_hi_u32 s38, s29, s35
	s_add_co_u32 s2, s36, s33
	s_wait_alu 0xfffe
	s_add_co_ci_u32 s2, s37, s27
	s_mul_i32 s34, s29, s35
	s_add_co_ci_u32 s35, s38, 0
	s_wait_alu 0xfffe
	s_add_nc_u64 s[34:35], s[2:3], s[34:35]
	s_wait_alu 0xfffe
	v_add_co_u32 v3, s2, s28, s34
	s_delay_alu instid0(VALU_DEP_1) | instskip(SKIP_1) | instid1(VALU_DEP_1)
	s_cmp_lg_u32 s2, 0
	s_add_co_ci_u32 s29, s29, s35
	v_readfirstlane_b32 s28, v3
	s_wait_alu 0xfffe
	s_delay_alu instid0(VALU_DEP_1)
	s_mul_u64 s[30:31], s[30:31], s[28:29]
	s_wait_alu 0xfffe
	s_mul_hi_u32 s35, s28, s31
	s_mul_i32 s34, s28, s31
	s_mul_hi_u32 s2, s28, s30
	s_mul_i32 s33, s29, s30
	s_wait_alu 0xfffe
	s_add_nc_u64 s[34:35], s[2:3], s[34:35]
	s_mul_hi_u32 s27, s29, s30
	s_mul_hi_u32 s28, s29, s31
	s_wait_alu 0xfffe
	s_add_co_u32 s2, s34, s33
	s_add_co_ci_u32 s2, s35, s27
	s_mul_i32 s30, s29, s31
	s_add_co_ci_u32 s31, s28, 0
	s_wait_alu 0xfffe
	s_add_nc_u64 s[30:31], s[2:3], s[30:31]
	s_wait_alu 0xfffe
	v_add_co_u32 v6, s2, v3, s30
	s_delay_alu instid0(VALU_DEP_1) | instskip(SKIP_1) | instid1(VALU_DEP_1)
	s_cmp_lg_u32 s2, 0
	s_add_co_ci_u32 s2, s29, s31
	v_mul_hi_u32 v13, v7, v6
	s_wait_alu 0xfffe
	v_mad_co_u64_u32 v[3:4], null, v7, s2, 0
	v_mad_co_u64_u32 v[9:10], null, v8, v6, 0
	;; [unrolled: 1-line block ×3, first 2 shown]
	s_delay_alu instid0(VALU_DEP_3) | instskip(SKIP_1) | instid1(VALU_DEP_4)
	v_add_co_u32 v3, vcc_lo, v13, v3
	s_wait_alu 0xfffd
	v_add_co_ci_u32_e32 v4, vcc_lo, 0, v4, vcc_lo
	s_delay_alu instid0(VALU_DEP_2) | instskip(SKIP_1) | instid1(VALU_DEP_2)
	v_add_co_u32 v3, vcc_lo, v3, v9
	s_wait_alu 0xfffd
	v_add_co_ci_u32_e32 v3, vcc_lo, v4, v10, vcc_lo
	s_wait_alu 0xfffd
	v_add_co_ci_u32_e32 v4, vcc_lo, 0, v12, vcc_lo
	s_delay_alu instid0(VALU_DEP_2) | instskip(SKIP_1) | instid1(VALU_DEP_2)
	v_add_co_u32 v6, vcc_lo, v3, v11
	s_wait_alu 0xfffd
	v_add_co_ci_u32_e32 v9, vcc_lo, 0, v4, vcc_lo
	s_delay_alu instid0(VALU_DEP_2) | instskip(SKIP_1) | instid1(VALU_DEP_3)
	v_mul_lo_u32 v10, s25, v6
	v_mad_co_u64_u32 v[3:4], null, s24, v6, 0
	v_mul_lo_u32 v11, s24, v9
	s_delay_alu instid0(VALU_DEP_2) | instskip(NEXT) | instid1(VALU_DEP_2)
	v_sub_co_u32 v3, vcc_lo, v7, v3
	v_add3_u32 v4, v4, v11, v10
	s_delay_alu instid0(VALU_DEP_1) | instskip(SKIP_1) | instid1(VALU_DEP_1)
	v_sub_nc_u32_e32 v10, v8, v4
	s_wait_alu 0xfffd
	v_subrev_co_ci_u32_e64 v10, s2, s25, v10, vcc_lo
	v_add_co_u32 v11, s2, v6, 2
	s_wait_alu 0xf1ff
	v_add_co_ci_u32_e64 v12, s2, 0, v9, s2
	v_sub_co_u32 v13, s2, v3, s24
	v_sub_co_ci_u32_e32 v4, vcc_lo, v8, v4, vcc_lo
	s_wait_alu 0xf1ff
	v_subrev_co_ci_u32_e64 v10, s2, 0, v10, s2
	s_delay_alu instid0(VALU_DEP_3) | instskip(NEXT) | instid1(VALU_DEP_3)
	v_cmp_le_u32_e32 vcc_lo, s24, v13
	v_cmp_eq_u32_e64 s2, s25, v4
	s_wait_alu 0xfffd
	v_cndmask_b32_e64 v13, 0, -1, vcc_lo
	v_cmp_le_u32_e32 vcc_lo, s25, v10
	s_wait_alu 0xfffd
	v_cndmask_b32_e64 v14, 0, -1, vcc_lo
	v_cmp_le_u32_e32 vcc_lo, s24, v3
	;; [unrolled: 3-line block ×3, first 2 shown]
	s_wait_alu 0xfffd
	v_cndmask_b32_e64 v15, 0, -1, vcc_lo
	v_cmp_eq_u32_e32 vcc_lo, s25, v10
	s_wait_alu 0xf1ff
	s_delay_alu instid0(VALU_DEP_2)
	v_cndmask_b32_e64 v3, v15, v3, s2
	s_wait_alu 0xfffd
	v_cndmask_b32_e32 v10, v14, v13, vcc_lo
	v_add_co_u32 v13, vcc_lo, v6, 1
	s_wait_alu 0xfffd
	v_add_co_ci_u32_e32 v14, vcc_lo, 0, v9, vcc_lo
	s_delay_alu instid0(VALU_DEP_3) | instskip(SKIP_1) | instid1(VALU_DEP_2)
	v_cmp_ne_u32_e32 vcc_lo, 0, v10
	s_wait_alu 0xfffd
	v_cndmask_b32_e32 v4, v14, v12, vcc_lo
	v_cndmask_b32_e32 v10, v13, v11, vcc_lo
	v_cmp_ne_u32_e32 vcc_lo, 0, v3
	s_wait_alu 0xfffd
	s_delay_alu instid0(VALU_DEP_2)
	v_dual_cndmask_b32 v4, v9, v4 :: v_dual_cndmask_b32 v3, v6, v10
.LBB0_4:                                ;   in Loop: Header=BB0_2 Depth=1
	s_wait_alu 0xfffe
	s_and_not1_saveexec_b32 s2, s26
	s_cbranch_execz .LBB0_6
; %bb.5:                                ;   in Loop: Header=BB0_2 Depth=1
	v_cvt_f32_u32_e32 v3, s24
	s_sub_co_i32 s26, 0, s24
	s_delay_alu instid0(VALU_DEP_1) | instskip(NEXT) | instid1(TRANS32_DEP_1)
	v_rcp_iflag_f32_e32 v3, v3
	v_mul_f32_e32 v3, 0x4f7ffffe, v3
	s_delay_alu instid0(VALU_DEP_1) | instskip(SKIP_1) | instid1(VALU_DEP_1)
	v_cvt_u32_f32_e32 v3, v3
	s_wait_alu 0xfffe
	v_mul_lo_u32 v4, s26, v3
	s_delay_alu instid0(VALU_DEP_1) | instskip(NEXT) | instid1(VALU_DEP_1)
	v_mul_hi_u32 v4, v3, v4
	v_add_nc_u32_e32 v3, v3, v4
	s_delay_alu instid0(VALU_DEP_1) | instskip(NEXT) | instid1(VALU_DEP_1)
	v_mul_hi_u32 v3, v7, v3
	v_mul_lo_u32 v4, v3, s24
	v_add_nc_u32_e32 v6, 1, v3
	s_delay_alu instid0(VALU_DEP_2) | instskip(NEXT) | instid1(VALU_DEP_1)
	v_sub_nc_u32_e32 v4, v7, v4
	v_subrev_nc_u32_e32 v9, s24, v4
	v_cmp_le_u32_e32 vcc_lo, s24, v4
	s_wait_alu 0xfffd
	s_delay_alu instid0(VALU_DEP_2) | instskip(NEXT) | instid1(VALU_DEP_1)
	v_dual_cndmask_b32 v4, v4, v9 :: v_dual_cndmask_b32 v3, v3, v6
	v_cmp_le_u32_e32 vcc_lo, s24, v4
	v_mov_b32_e32 v4, v5
	s_delay_alu instid0(VALU_DEP_3) | instskip(SKIP_1) | instid1(VALU_DEP_1)
	v_add_nc_u32_e32 v6, 1, v3
	s_wait_alu 0xfffd
	v_cndmask_b32_e32 v3, v3, v6, vcc_lo
.LBB0_6:                                ;   in Loop: Header=BB0_2 Depth=1
	s_wait_alu 0xfffe
	s_or_b32 exec_lo, exec_lo, s2
	v_mul_lo_u32 v6, v4, s24
	s_delay_alu instid0(VALU_DEP_2)
	v_mul_lo_u32 v11, v3, s25
	s_load_b64 s[26:27], s[18:19], 0x0
	v_mad_co_u64_u32 v[9:10], null, v3, s24, 0
	s_load_b64 s[24:25], s[16:17], 0x0
	s_add_nc_u64 s[20:21], s[20:21], 1
	s_add_nc_u64 s[16:17], s[16:17], 8
	s_wait_alu 0xfffe
	v_cmp_ge_u64_e64 s2, s[20:21], s[10:11]
	s_add_nc_u64 s[18:19], s[18:19], 8
	s_add_nc_u64 s[22:23], s[22:23], 8
	v_add3_u32 v6, v10, v11, v6
	v_sub_co_u32 v7, vcc_lo, v7, v9
	s_wait_alu 0xfffd
	s_delay_alu instid0(VALU_DEP_2) | instskip(SKIP_2) | instid1(VALU_DEP_1)
	v_sub_co_ci_u32_e32 v6, vcc_lo, v8, v6, vcc_lo
	s_and_b32 vcc_lo, exec_lo, s2
	s_wait_kmcnt 0x0
	v_mul_lo_u32 v8, s26, v6
	v_mul_lo_u32 v9, s27, v7
	v_mad_co_u64_u32 v[19:20], null, s26, v7, v[19:20]
	v_mul_lo_u32 v6, s24, v6
	v_mul_lo_u32 v10, s25, v7
	v_mad_co_u64_u32 v[1:2], null, s24, v7, v[1:2]
	s_delay_alu instid0(VALU_DEP_4) | instskip(NEXT) | instid1(VALU_DEP_2)
	v_add3_u32 v20, v9, v20, v8
	v_add3_u32 v2, v10, v2, v6
	s_wait_alu 0xfffe
	s_cbranch_vccnz .LBB0_9
; %bb.7:                                ;   in Loop: Header=BB0_2 Depth=1
	v_dual_mov_b32 v8, v4 :: v_dual_mov_b32 v7, v3
	s_branch .LBB0_2
.LBB0_8:
	v_dual_mov_b32 v1, v19 :: v_dual_mov_b32 v2, v20
	v_dual_mov_b32 v3, v7 :: v_dual_mov_b32 v4, v8
.LBB0_9:
	s_load_b64 s[0:1], s[0:1], 0x28
	v_mul_hi_u32 v5, 0x1c71c72, v0
	s_lshl_b64 s[10:11], s[10:11], 3
                                        ; implicit-def: $vgpr54
	s_wait_kmcnt 0x0
	v_cmp_gt_u64_e32 vcc_lo, s[0:1], v[3:4]
	v_cmp_le_u64_e64 s0, s[0:1], v[3:4]
	s_delay_alu instid0(VALU_DEP_1)
	s_and_saveexec_b32 s1, s0
	s_wait_alu 0xfffe
	s_xor_b32 s0, exec_lo, s1
; %bb.10:
	v_mul_u32_u24_e32 v5, 0x90, v5
                                        ; implicit-def: $vgpr19_vgpr20
	s_delay_alu instid0(VALU_DEP_1)
	v_sub_nc_u32_e32 v54, v0, v5
                                        ; implicit-def: $vgpr5
                                        ; implicit-def: $vgpr0
; %bb.11:
	s_wait_alu 0xfffe
	s_or_saveexec_b32 s1, s0
	s_add_nc_u64 s[2:3], s[14:15], s[10:11]
                                        ; implicit-def: $vgpr33
                                        ; implicit-def: $vgpr45
                                        ; implicit-def: $vgpr53
                                        ; implicit-def: $vgpr49
                                        ; implicit-def: $vgpr47
                                        ; implicit-def: $vgpr23
                                        ; implicit-def: $vgpr43
                                        ; implicit-def: $vgpr37
                                        ; implicit-def: $vgpr41
                                        ; implicit-def: $vgpr10
                                        ; implicit-def: $vgpr21
                                        ; implicit-def: $vgpr31
                                        ; implicit-def: $vgpr29
                                        ; implicit-def: $vgpr25
                                        ; implicit-def: $vgpr6
                                        ; implicit-def: $vgpr12
                                        ; implicit-def: $vgpr16
                                        ; implicit-def: $vgpr18
                                        ; implicit-def: $vgpr14
                                        ; implicit-def: $vgpr8
                                        ; implicit-def: $vgpr27
                                        ; implicit-def: $vgpr39
                                        ; implicit-def: $vgpr35
                                        ; implicit-def: $vgpr51
	s_wait_alu 0xfffe
	s_xor_b32 exec_lo, exec_lo, s1
	s_cbranch_execz .LBB0_13
; %bb.12:
	s_add_nc_u64 s[10:11], s[12:13], s[10:11]
	s_load_b64 s[10:11], s[10:11], 0x0
	s_wait_kmcnt 0x0
	v_mul_lo_u32 v8, s11, v3
	v_mul_lo_u32 v9, s10, v4
	v_mad_co_u64_u32 v[6:7], null, s10, v3, 0
	s_delay_alu instid0(VALU_DEP_1) | instskip(SKIP_1) | instid1(VALU_DEP_2)
	v_add3_u32 v7, v7, v9, v8
	v_mul_u32_u24_e32 v9, 0x90, v5
	v_lshlrev_b64_e32 v[5:6], 3, v[6:7]
	v_lshlrev_b64_e32 v[7:8], 3, v[19:20]
	s_delay_alu instid0(VALU_DEP_3) | instskip(NEXT) | instid1(VALU_DEP_3)
	v_sub_nc_u32_e32 v54, v0, v9
	v_add_co_u32 v0, s0, s4, v5
	s_wait_alu 0xf1ff
	s_delay_alu instid0(VALU_DEP_4) | instskip(NEXT) | instid1(VALU_DEP_3)
	v_add_co_ci_u32_e64 v5, s0, s5, v6, s0
	v_lshlrev_b32_e32 v6, 3, v54
	s_delay_alu instid0(VALU_DEP_3) | instskip(SKIP_1) | instid1(VALU_DEP_3)
	v_add_co_u32 v0, s0, v0, v7
	s_wait_alu 0xf1ff
	v_add_co_ci_u32_e64 v5, s0, v5, v8, s0
	s_delay_alu instid0(VALU_DEP_2) | instskip(SKIP_1) | instid1(VALU_DEP_2)
	v_add_co_u32 v13, s0, v0, v6
	s_wait_alu 0xf1ff
	v_add_co_ci_u32_e64 v14, s0, 0, v5, s0
	s_clause 0x17
	global_load_b64 v[32:33], v[13:14], off
	global_load_b64 v[22:23], v[13:14], off offset:1152
	global_load_b64 v[9:10], v[13:14], off offset:2304
	;; [unrolled: 1-line block ×23, first 2 shown]
.LBB0_13:
	s_or_b32 exec_lo, exec_lo, s1
	s_wait_loadcnt 0x7
	v_dual_add_f32 v0, v52, v48 :: v_dual_sub_f32 v55, v53, v49
	v_dual_add_f32 v19, v32, v52 :: v_dual_add_f32 v56, v53, v49
	v_sub_f32_e32 v52, v52, v48
	s_delay_alu instid0(VALU_DEP_3) | instskip(NEXT) | instid1(VALU_DEP_3)
	v_fmac_f32_e32 v32, -0.5, v0
	v_dual_add_f32 v0, v33, v53 :: v_dual_add_f32 v19, v19, v48
	s_wait_loadcnt 0x3
	v_dual_fmac_f32 v33, -0.5, v56 :: v_dual_add_f32 v48, v47, v51
	s_load_b64 s[2:3], s[2:3], 0x0
	s_delay_alu instid0(VALU_DEP_2) | instskip(NEXT) | instid1(VALU_DEP_2)
	v_dual_add_f32 v0, v0, v49 :: v_dual_add_f32 v49, v46, v50
	v_fmamk_f32 v57, v52, 0x3f5db3d7, v33
	v_fmamk_f32 v53, v55, 0xbf5db3d7, v32
	v_fmac_f32_e32 v32, 0x3f5db3d7, v55
	v_add_f32_e32 v55, v45, v51
	v_dual_fmac_f32 v45, -0.5, v48 :: v_dual_sub_f32 v48, v50, v46
	v_add_f32_e32 v50, v44, v50
	v_dual_fmac_f32 v44, -0.5, v49 :: v_dual_fmac_f32 v33, 0xbf5db3d7, v52
	v_sub_f32_e32 v49, v51, v47
	s_delay_alu instid0(VALU_DEP_4) | instskip(NEXT) | instid1(VALU_DEP_4)
	v_fmamk_f32 v51, v48, 0x3f5db3d7, v45
	v_dual_fmac_f32 v45, 0xbf5db3d7, v48 :: v_dual_add_f32 v48, v46, v50
	v_cmp_gt_u32_e64 s0, 0x48, v54
	s_delay_alu instid0(VALU_DEP_4) | instskip(SKIP_2) | instid1(VALU_DEP_3)
	v_fmamk_f32 v46, v49, 0xbf5db3d7, v44
	v_fmac_f32_e32 v44, 0x3f5db3d7, v49
	v_mul_f32_e32 v52, 0xbf5db3d7, v51
	v_mul_f32_e32 v59, 0x3f5db3d7, v46
	s_delay_alu instid0(VALU_DEP_1) | instskip(NEXT) | instid1(VALU_DEP_1)
	v_dual_mul_f32 v56, 0xbf5db3d7, v45 :: v_dual_fmac_f32 v59, 0.5, v51
	v_fmac_f32_e32 v56, -0.5, v44
	s_delay_alu instid0(VALU_DEP_2) | instskip(SKIP_1) | instid1(VALU_DEP_3)
	v_add_f32_e32 v50, v57, v59
	v_sub_f32_e32 v57, v57, v59
	v_dual_add_f32 v58, v47, v55 :: v_dual_add_f32 v47, v32, v56
	v_dual_mul_f32 v60, -0.5, v45 :: v_dual_add_f32 v45, v19, v48
	s_delay_alu instid0(VALU_DEP_2) | instskip(NEXT) | instid1(VALU_DEP_2)
	v_dual_sub_f32 v48, v19, v48 :: v_dual_add_f32 v49, v0, v58
	v_dual_add_f32 v19, v22, v42 :: v_dual_fmac_f32 v60, 0x3f5db3d7, v44
	v_fmac_f32_e32 v52, 0.5, v46
	v_sub_f32_e32 v56, v32, v56
	v_add_f32_e32 v32, v43, v41
	s_delay_alu instid0(VALU_DEP_4)
	v_add_f32_e32 v19, v19, v40
	v_add_f32_e32 v51, v33, v60
	;; [unrolled: 1-line block ×3, first 2 shown]
	v_dual_sub_f32 v55, v53, v52 :: v_dual_sub_f32 v52, v0, v58
	v_add_f32_e32 v0, v42, v40
	v_dual_sub_f32 v58, v33, v60 :: v_dual_add_f32 v33, v23, v43
	v_fmac_f32_e32 v23, -0.5, v32
	s_delay_alu instid0(VALU_DEP_3) | instskip(SKIP_1) | instid1(VALU_DEP_4)
	v_fmac_f32_e32 v22, -0.5, v0
	v_sub_f32_e32 v0, v43, v41
	v_dual_add_f32 v43, v33, v41 :: v_dual_sub_f32 v32, v42, v40
	s_wait_loadcnt 0x2
	v_dual_add_f32 v40, v37, v35 :: v_dual_add_f32 v33, v36, v38
	s_delay_alu instid0(VALU_DEP_3) | instskip(SKIP_1) | instid1(VALU_DEP_3)
	v_fmamk_f32 v42, v0, 0xbf5db3d7, v22
	v_fmac_f32_e32 v22, 0x3f5db3d7, v0
	v_dual_add_f32 v0, v37, v39 :: v_dual_add_f32 v53, v39, v40
	s_delay_alu instid0(VALU_DEP_1) | instskip(SKIP_2) | instid1(VALU_DEP_4)
	v_dual_fmac_f32 v35, -0.5, v0 :: v_dual_sub_f32 v0, v36, v38
	v_add_f32_e32 v36, v36, v34
	v_dual_fmac_f32 v34, -0.5, v33 :: v_dual_sub_f32 v33, v37, v39
	v_add_f32_e32 v39, v43, v53
	s_delay_alu instid0(VALU_DEP_4) | instskip(SKIP_4) | instid1(VALU_DEP_2)
	v_fmamk_f32 v37, v0, 0x3f5db3d7, v35
	v_fmac_f32_e32 v35, 0xbf5db3d7, v0
	v_fmamk_f32 v44, v32, 0x3f5db3d7, v23
	v_dual_fmac_f32 v23, 0xbf5db3d7, v32 :: v_dual_fmamk_f32 v32, v33, 0xbf5db3d7, v34
	v_fmac_f32_e32 v34, 0x3f5db3d7, v33
	v_dual_mul_f32 v60, -0.5, v35 :: v_dual_mul_f32 v59, 0x3f5db3d7, v32
	s_delay_alu instid0(VALU_DEP_1) | instskip(NEXT) | instid1(VALU_DEP_1)
	v_dual_fmac_f32 v60, 0x3f5db3d7, v34 :: v_dual_fmac_f32 v59, 0.5, v37
	v_add_f32_e32 v41, v23, v60
	v_add_f32_e32 v0, v38, v36
	v_mul_f32_e32 v36, 0xbf5db3d7, v37
	v_dual_mul_f32 v38, 0xbf5db3d7, v35 :: v_dual_sub_f32 v23, v23, v60
	s_delay_alu instid0(VALU_DEP_3) | instskip(NEXT) | instid1(VALU_DEP_3)
	v_dual_add_f32 v40, v44, v59 :: v_dual_sub_f32 v35, v19, v0
	v_fmac_f32_e32 v36, 0.5, v32
	s_delay_alu instid0(VALU_DEP_3) | instskip(SKIP_2) | instid1(VALU_DEP_3)
	v_fmac_f32_e32 v38, -0.5, v34
	v_add_f32_e32 v32, v19, v0
	v_dual_add_f32 v0, v30, v28 :: v_dual_add_f32 v19, v9, v30
	v_add_f32_e32 v34, v22, v38
	v_dual_sub_f32 v37, v22, v38 :: v_dual_sub_f32 v22, v44, v59
	s_delay_alu instid0(VALU_DEP_3) | instskip(NEXT) | instid1(VALU_DEP_4)
	v_dual_fmac_f32 v9, -0.5, v0 :: v_dual_sub_f32 v0, v31, v29
	v_dual_add_f32 v44, v19, v28 :: v_dual_add_f32 v19, v10, v31
	v_add_f32_e32 v38, v31, v29
	v_sub_f32_e32 v28, v30, v28
	s_delay_alu instid0(VALU_DEP_4)
	v_fmamk_f32 v30, v0, 0xbf5db3d7, v9
	s_wait_loadcnt 0x1
	v_dual_fmac_f32 v9, 0x3f5db3d7, v0 :: v_dual_add_f32 v0, v25, v27
	v_add_f32_e32 v31, v19, v29
	v_add_f32_e32 v19, v24, v26
	;; [unrolled: 1-line block ×4, first 2 shown]
	v_fmac_f32_e32 v21, -0.5, v0
	v_sub_f32_e32 v0, v26, v24
	v_add_f32_e32 v26, v20, v26
	v_dual_fmac_f32 v20, -0.5, v19 :: v_dual_sub_f32 v19, v27, v25
	v_add_f32_e32 v59, v25, v29
	s_delay_alu instid0(VALU_DEP_4) | instskip(NEXT) | instid1(VALU_DEP_4)
	v_fmamk_f32 v27, v0, 0x3f5db3d7, v21
	v_dual_fmac_f32 v21, 0xbf5db3d7, v0 :: v_dual_add_f32 v0, v24, v26
	s_delay_alu instid0(VALU_DEP_4)
	v_fmamk_f32 v24, v19, 0xbf5db3d7, v20
	v_sub_f32_e32 v36, v42, v36
	v_fmac_f32_e32 v20, 0x3f5db3d7, v19
	v_sub_f32_e32 v42, v43, v53
	v_mul_f32_e32 v53, 0xbf5db3d7, v21
	v_dual_mul_f32 v60, 0x3f5db3d7, v24 :: v_dual_mul_f32 v21, -0.5, v21
	v_dual_add_f32 v19, v44, v0 :: v_dual_add_f32 v26, v31, v59
	s_delay_alu instid0(VALU_DEP_2) | instskip(NEXT) | instid1(VALU_DEP_3)
	v_dual_fmac_f32 v53, -0.5, v20 :: v_dual_fmac_f32 v60, 0.5, v27
	v_dual_fmac_f32 v10, -0.5, v38 :: v_dual_fmac_f32 v21, 0x3f5db3d7, v20
	s_delay_alu instid0(VALU_DEP_1) | instskip(SKIP_1) | instid1(VALU_DEP_1)
	v_dual_sub_f32 v29, v9, v53 :: v_dual_fmamk_f32 v38, v28, 0x3f5db3d7, v10
	v_fmac_f32_e32 v10, 0xbf5db3d7, v28
	v_dual_mul_f32 v28, 0xbf5db3d7, v27 :: v_dual_add_f32 v43, v10, v21
	v_dual_sub_f32 v25, v44, v0 :: v_dual_add_f32 v0, v11, v17
	s_delay_alu instid0(VALU_DEP_2) | instskip(SKIP_2) | instid1(VALU_DEP_4)
	v_fmac_f32_e32 v28, 0.5, v24
	v_add_f32_e32 v24, v9, v53
	v_add_f32_e32 v9, v5, v11
	v_dual_sub_f32 v44, v31, v59 :: v_dual_fmac_f32 v5, -0.5, v0
	v_dual_sub_f32 v0, v12, v18 :: v_dual_add_f32 v27, v38, v60
	v_sub_f32_e32 v59, v38, v60
	v_sub_f32_e32 v60, v10, v21
	v_add_f32_e32 v10, v6, v12
	v_add_f32_e32 v12, v12, v18
	v_fmamk_f32 v21, v0, 0xbf5db3d7, v5
	s_wait_loadcnt 0x0
	v_dual_fmac_f32 v5, 0x3f5db3d7, v0 :: v_dual_add_f32 v0, v16, v14
	v_add_f32_e32 v18, v10, v18
	v_fmac_f32_e32 v6, -0.5, v12
	v_add_f32_e32 v10, v15, v13
	v_add_f32_e32 v12, v16, v8
	v_fmac_f32_e32 v8, -0.5, v0
	v_sub_f32_e32 v0, v15, v13
	v_add_f32_e32 v15, v15, v7
	v_fmac_f32_e32 v7, -0.5, v10
	v_dual_sub_f32 v10, v16, v14 :: v_dual_sub_f32 v11, v11, v17
	s_delay_alu instid0(VALU_DEP_4) | instskip(NEXT) | instid1(VALU_DEP_4)
	v_fmamk_f32 v16, v0, 0x3f5db3d7, v8
	v_dual_fmac_f32 v8, 0xbf5db3d7, v0 :: v_dual_add_f32 v13, v13, v15
	s_delay_alu instid0(VALU_DEP_3) | instskip(SKIP_1) | instid1(VALU_DEP_3)
	v_fmamk_f32 v0, v10, 0xbf5db3d7, v7
	v_dual_fmac_f32 v7, 0x3f5db3d7, v10 :: v_dual_add_f32 v20, v30, v28
	v_mul_f32_e32 v31, 0xbf5db3d7, v8
	v_mul_u32_u24_e32 v53, 6, v54
	v_add_f32_e32 v9, v9, v17
	v_fmamk_f32 v17, v11, 0x3f5db3d7, v6
	v_fmac_f32_e32 v6, 0xbf5db3d7, v11
	v_dual_fmac_f32 v31, -0.5, v7 :: v_dual_sub_f32 v28, v30, v28
	v_mul_f32_e32 v30, 0xbf5db3d7, v16
	v_add_f32_e32 v14, v14, v12
	v_mul_f32_e32 v38, -0.5, v8
	s_delay_alu instid0(VALU_DEP_3) | instskip(SKIP_1) | instid1(VALU_DEP_3)
	v_fmac_f32_e32 v30, 0.5, v0
	v_mul_f32_e32 v0, 0x3f5db3d7, v0
	v_fmac_f32_e32 v38, 0x3f5db3d7, v7
	v_add_f32_e32 v7, v5, v31
	s_delay_alu instid0(VALU_DEP_3)
	v_dual_add_f32 v11, v21, v30 :: v_dual_fmac_f32 v0, 0.5, v16
	v_sub_f32_e32 v12, v21, v30
	v_lshl_add_u32 v21, v53, 2, 0
	ds_store_2addr_b64 v21, v[45:46], v[47:48] offset1:1
	ds_store_b64 v21, v[55:56] offset:16
	v_add_f32_e32 v16, v17, v0
	v_sub_f32_e32 v63, v17, v0
	v_add_nc_u32_e32 v53, 0xd80, v21
	v_mad_i32_i24 v0, 0xffffffec, v54, v21
	v_add_nc_u32_e32 v85, 0x1b00, v21
	v_add_f32_e32 v10, v9, v13
	v_sub_f32_e32 v8, v9, v13
	v_dual_sub_f32 v13, v5, v31 :: v_dual_add_nc_u32 v86, 0x2880, v21
	ds_store_2addr_b64 v53, v[32:33], v[34:35] offset1:1
	ds_store_2addr_b64 v85, v[19:20], v[24:25] offset1:1
	;; [unrolled: 1-line block ×3, first 2 shown]
	ds_store_b64 v21, v[36:37] offset:3472
	ds_store_b64 v21, v[28:29] offset:6928
	;; [unrolled: 1-line block ×3, first 2 shown]
	v_add_nc_u32_e32 v11, 0x800, v0
	v_add_nc_u32_e32 v34, 0x1200, v0
	;; [unrolled: 1-line block ×4, first 2 shown]
	v_add_f32_e32 v15, v18, v14
	v_sub_f32_e32 v62, v18, v14
	global_wb scope:SCOPE_SE
	s_wait_dscnt 0x0
	s_wait_kmcnt 0x0
	s_barrier_signal -1
	s_barrier_wait -1
	global_inv scope:SCOPE_SE
	ds_load_2addr_b32 v[7:8], v0 offset1:144
	ds_load_2addr_b32 v[65:66], v11 offset0:64 offset1:208
	ds_load_2addr_b32 v[67:68], v34 offset1:144
	ds_load_2addr_b32 v[69:70], v31 offset0:64 offset1:208
	ds_load_2addr_b32 v[71:72], v35 offset1:144
	v_and_b32_e32 v14, 0xff, v54
	v_add_nc_u32_e32 v9, 0x90, v54
	v_add_nc_u32_e32 v33, 0x2c00, v0
	;; [unrolled: 1-line block ×4, first 2 shown]
	v_mul_lo_u16 v10, 0xab, v14
	v_and_b32_e32 v13, 0xffff, v9
	v_add_nc_u32_e32 v36, 0x1600, v0
	v_add_nc_u32_e32 v37, 0x1e00, v0
	;; [unrolled: 1-line block ×3, first 2 shown]
	v_lshrrev_b16 v17, 10, v10
	v_mul_u32_u24_e32 v12, 0xaaab, v13
	v_add_f32_e32 v61, v6, v38
	v_sub_f32_e32 v64, v6, v38
	ds_load_2addr_b32 v[73:74], v33 offset0:64 offset1:208
	ds_load_2addr_b32 v[5:6], v29 offset0:32 offset1:176
	;; [unrolled: 1-line block ×3, first 2 shown]
	v_mul_lo_u16 v10, v17, 6
	v_lshrrev_b32_e32 v18, 18, v12
	v_add_nc_u32_e32 v38, 0x3000, v0
	ds_load_2addr_b32 v[77:78], v36 offset0:32 offset1:176
	ds_load_2addr_b32 v[79:80], v37 offset0:96 offset1:240
	;; [unrolled: 1-line block ×4, first 2 shown]
	v_sub_nc_u16 v10, v54, v10
	global_wb scope:SCOPE_SE
	s_wait_dscnt 0x0
	s_barrier_signal -1
	s_barrier_wait -1
	global_inv scope:SCOPE_SE
	v_and_b32_e32 v20, 0xff, v10
	v_mul_lo_u16 v10, v18, 6
	ds_store_2addr_b64 v21, v[49:50], v[51:52] offset1:1
	ds_store_b64 v21, v[57:58] offset:16
	ds_store_2addr_b64 v53, v[39:40], v[41:42] offset1:1
	ds_store_2addr_b64 v85, v[26:27], v[43:44] offset1:1
	;; [unrolled: 1-line block ×3, first 2 shown]
	ds_store_b64 v21, v[22:23] offset:3472
	ds_store_b64 v21, v[59:60] offset:6928
	;; [unrolled: 1-line block ×3, first 2 shown]
	v_mul_u32_u24_e32 v12, 5, v20
	v_sub_nc_u16 v10, v9, v10
	global_wb scope:SCOPE_SE
	s_wait_dscnt 0x0
	s_barrier_signal -1
	s_barrier_wait -1
	v_lshlrev_b32_e32 v53, 3, v12
	v_and_b32_e32 v19, 0xffff, v10
	global_inv scope:SCOPE_SE
	v_add_nc_u32_e32 v12, 0x120, v54
	v_mul_u32_u24_e32 v18, 0x90, v18
	global_load_b128 v[21:24], v53, s[8:9]
	v_mul_u32_u24_e32 v10, 5, v19
	v_lshlrev_b32_e32 v19, 2, v19
	v_and_b32_e32 v15, 0xffff, v12
	v_mul_u32_u24_e32 v13, 0xe38f, v13
	v_and_b32_e32 v17, 0xffff, v17
	v_lshlrev_b32_e32 v87, 3, v10
	s_clause 0x2
	global_load_b128 v[25:28], v87, s[8:9]
	global_load_b128 v[39:42], v53, s[8:9] offset:16
	global_load_b128 v[43:46], v87, s[8:9] offset:16
	ds_load_2addr_b32 v[51:52], v11 offset0:64 offset1:208
	ds_load_2addr_b32 v[59:60], v34 offset1:144
	ds_load_2addr_b32 v[63:64], v35 offset1:144
	ds_load_2addr_b32 v[61:62], v31 offset0:64 offset1:208
	global_load_b64 v[85:86], v53, s[8:9] offset:32
	v_mul_u32_u24_e32 v47, 0xaaab, v15
	v_add3_u32 v18, 0, v18, v19
	v_lshrrev_b32_e32 v13, 21, v13
	v_mul_u32_u24_e32 v15, 0xe38f, v15
	v_mul_u32_u24_e32 v17, 0x90, v17
	v_lshrrev_b32_e32 v88, 18, v47
	s_delay_alu instid0(VALU_DEP_3) | instskip(NEXT) | instid1(VALU_DEP_2)
	v_lshrrev_b32_e32 v15, 21, v15
	v_mul_lo_u16 v48, v88, 6
	s_wait_loadcnt_dscnt 0x403
	v_mul_f32_e32 v94, v51, v22
	s_wait_dscnt 0x2
	v_dual_mul_f32 v22, v65, v22 :: v_dual_mul_f32 v95, v59, v24
	v_mul_f32_e32 v24, v67, v24
	s_delay_alu instid0(VALU_DEP_3) | instskip(NEXT) | instid1(VALU_DEP_3)
	v_fmac_f32_e32 v94, v65, v21
	v_fma_f32 v96, v51, v21, -v22
	s_delay_alu instid0(VALU_DEP_4) | instskip(NEXT) | instid1(VALU_DEP_4)
	v_fmac_f32_e32 v95, v67, v23
	v_fma_f32 v59, v59, v23, -v24
	s_wait_loadcnt 0x3
	v_mul_f32_e32 v67, v52, v26
	v_dual_mul_f32 v21, v66, v26 :: v_dual_mul_f32 v26, v68, v28
	s_wait_loadcnt_dscnt 0x201
	v_mul_f32_e32 v97, v63, v42
	s_delay_alu instid0(VALU_DEP_3)
	v_fmac_f32_e32 v67, v66, v25
	global_load_b64 v[65:66], v87, s[8:9] offset:32
	v_mul_f32_e32 v53, v60, v28
	v_fma_f32 v60, v60, v27, -v26
	v_mul_f32_e32 v26, v71, v42
	v_fma_f32 v87, v52, v25, -v21
	v_mul_f32_e32 v25, v69, v40
	v_fmac_f32_e32 v53, v68, v27
	s_wait_dscnt 0x0
	v_dual_fmac_f32 v97, v71, v41 :: v_dual_mul_f32 v68, v61, v40
	v_fma_f32 v63, v63, v41, -v26
	s_wait_loadcnt 0x2
	v_mul_f32_e32 v41, v70, v44
	v_fma_f32 v61, v61, v39, -v25
	v_dual_fmac_f32 v68, v69, v39 :: v_dual_mul_f32 v69, v62, v44
	s_delay_alu instid0(VALU_DEP_3) | instskip(SKIP_4) | instid1(VALU_DEP_3)
	v_fma_f32 v62, v62, v43, -v41
	ds_load_2addr_b32 v[41:42], v32 offset0:96 offset1:240
	v_dual_fmac_f32 v69, v70, v43 :: v_dual_add_nc_u32 v10, 0x1b0, v54
	v_mul_f32_e32 v43, v72, v46
	v_mul_f32_e32 v70, v64, v46
	v_and_b32_e32 v16, 0xffff, v10
	s_delay_alu instid0(VALU_DEP_3) | instskip(SKIP_3) | instid1(VALU_DEP_2)
	v_fma_f32 v64, v64, v45, -v43
	ds_load_2addr_b32 v[43:44], v36 offset0:32 offset1:176
	v_mul_u32_u24_e32 v47, 0xaaab, v16
	v_fmac_f32_e32 v70, v72, v45
	v_lshrrev_b32_e32 v89, 18, v47
	v_sub_nc_u16 v47, v12, v48
	s_delay_alu instid0(VALU_DEP_2) | instskip(NEXT) | instid1(VALU_DEP_2)
	v_mul_lo_u16 v48, v89, 6
	v_and_b32_e32 v90, 0xffff, v47
	v_mul_u32_u24_e32 v19, 0x90, v89
	s_delay_alu instid0(VALU_DEP_3) | instskip(NEXT) | instid1(VALU_DEP_3)
	v_sub_nc_u16 v47, v10, v48
	v_mul_u32_u24_e32 v48, 5, v90
	s_delay_alu instid0(VALU_DEP_2) | instskip(NEXT) | instid1(VALU_DEP_1)
	v_and_b32_e32 v91, 0xffff, v47
	v_mul_u32_u24_e32 v55, 5, v91
	s_delay_alu instid0(VALU_DEP_1)
	v_lshlrev_b32_e32 v93, 3, v55
	s_clause 0x1
	global_load_b128 v[25:28], v93, s[8:9] offset:16
	global_load_b64 v[39:40], v93, s[8:9] offset:32
	v_lshlrev_b32_e32 v92, 3, v48
	s_clause 0x3
	global_load_b128 v[55:58], v93, s[8:9]
	global_load_b64 v[51:52], v92, s[8:9] offset:32
	global_load_b128 v[47:50], v92, s[8:9]
	global_load_b128 v[21:24], v92, s[8:9] offset:16
	s_wait_loadcnt 0x1
	v_mul_f32_e32 v45, v75, v48
	s_wait_dscnt 0x0
	v_mul_f32_e32 v72, v43, v50
	v_mul_f32_e32 v46, v77, v50
	;; [unrolled: 1-line block ×3, first 2 shown]
	v_lshlrev_b32_e32 v20, 2, v20
	v_fma_f32 v50, v41, v47, -v45
	v_fmac_f32_e32 v72, v77, v49
	v_fma_f32 v49, v43, v49, -v46
	ds_load_2addr_b32 v[45:46], v33 offset0:64 offset1:208
	v_fmac_f32_e32 v71, v75, v47
	v_mul_f32_e32 v75, v42, v56
	v_mul_f32_e32 v41, v76, v56
	;; [unrolled: 1-line block ×4, first 2 shown]
	v_mul_u32_u24_e32 v16, 0xe38f, v16
	v_dual_fmac_f32 v75, v76, v55 :: v_dual_mul_f32 v76, v73, v86
	s_delay_alu instid0(VALU_DEP_4) | instskip(NEXT) | instid1(VALU_DEP_4)
	v_fmac_f32_e32 v56, v78, v57
	v_fma_f32 v57, v44, v57, -v43
	v_fma_f32 v55, v42, v55, -v41
	ds_load_2addr_b32 v[41:42], v37 offset0:96 offset1:240
	v_lshrrev_b32_e32 v89, 21, v16
	v_add3_u32 v17, 0, v17, v20
	v_mul_u32_u24_e32 v20, 0x90, v88
	s_delay_alu instid0(VALU_DEP_3)
	v_mul_lo_u16 v16, v89, 36
	s_wait_dscnt 0x1
	v_mul_f32_e32 v58, v45, v86
	v_fma_f32 v76, v45, v85, -v76
	v_mul_f32_e32 v45, v74, v66
	ds_load_2addr_b32 v[43:44], v38 offset0:96 offset1:240
	v_sub_nc_u16 v16, v10, v16
	v_dual_fmac_f32 v58, v73, v85 :: v_dual_mul_f32 v73, v46, v66
	ds_load_2addr_b32 v[47:48], v30 offset0:32 offset1:176
	v_fmac_f32_e32 v73, v74, v65
	v_fma_f32 v65, v46, v65, -v45
	ds_load_2addr_b32 v[45:46], v0 offset1:144
	s_wait_dscnt 0x2
	v_mul_f32_e32 v77, v43, v52
	s_wait_loadcnt_dscnt 0x1
	v_mul_f32_e32 v74, v47, v24
	s_delay_alu instid0(VALU_DEP_2) | instskip(NEXT) | instid1(VALU_DEP_2)
	v_dual_mul_f32 v24, v81, v24 :: v_dual_fmac_f32 v77, v83, v51
	v_fmac_f32_e32 v74, v81, v23
	s_delay_alu instid0(VALU_DEP_2) | instskip(SKIP_2) | instid1(VALU_DEP_2)
	v_fma_f32 v23, v47, v23, -v24
	v_dual_mul_f32 v24, v83, v52 :: v_dual_mul_f32 v47, v42, v26
	v_mul_f32_e32 v26, v80, v26
	v_fma_f32 v24, v43, v51, -v24
	v_mul_f32_e32 v43, v48, v28
	s_delay_alu instid0(VALU_DEP_4) | instskip(NEXT) | instid1(VALU_DEP_4)
	v_dual_mul_f32 v28, v82, v28 :: v_dual_fmac_f32 v47, v80, v25
	v_fma_f32 v25, v42, v25, -v26
	s_delay_alu instid0(VALU_DEP_3) | instskip(NEXT) | instid1(VALU_DEP_3)
	v_dual_mul_f32 v26, v44, v40 :: v_dual_fmac_f32 v43, v82, v27
	v_fma_f32 v27, v48, v27, -v28
	v_add_f32_e32 v28, v95, v97
	v_mul_f32_e32 v40, v84, v40
	v_add_f32_e32 v42, v7, v95
	v_fmac_f32_e32 v26, v84, v39
	s_delay_alu instid0(VALU_DEP_4)
	v_fma_f32 v7, -0.5, v28, v7
	v_sub_f32_e32 v28, v59, v63
	v_fma_f32 v39, v44, v39, -v40
	v_add_f32_e32 v40, v59, v63
	s_wait_dscnt 0x0
	v_dual_add_f32 v44, v45, v59 :: v_dual_add_f32 v59, v96, v61
	v_fmamk_f32 v48, v28, 0xbf5db3d7, v7
	v_fmac_f32_e32 v7, 0x3f5db3d7, v28
	v_add_f32_e32 v28, v61, v76
	v_fma_f32 v40, -0.5, v40, v45
	v_dual_sub_f32 v45, v95, v97 :: v_dual_add_f32 v52, v68, v58
	v_add_f32_e32 v44, v44, v63
	s_delay_alu instid0(VALU_DEP_4) | instskip(NEXT) | instid1(VALU_DEP_3)
	v_fmac_f32_e32 v96, -0.5, v28
	v_dual_sub_f32 v28, v68, v58 :: v_dual_fmamk_f32 v51, v45, 0x3f5db3d7, v40
	v_dual_add_f32 v63, v94, v68 :: v_dual_fmac_f32 v40, 0xbf5db3d7, v45
	v_add_f32_e32 v59, v59, v76
	v_fmac_f32_e32 v94, -0.5, v52
	s_delay_alu instid0(VALU_DEP_4) | instskip(SKIP_3) | instid1(VALU_DEP_4)
	v_dual_sub_f32 v52, v61, v76 :: v_dual_fmamk_f32 v45, v28, 0x3f5db3d7, v96
	v_fmac_f32_e32 v96, 0xbf5db3d7, v28
	v_add_f32_e32 v28, v63, v58
	v_add_f32_e32 v42, v42, v97
	v_fmamk_f32 v58, v52, 0xbf5db3d7, v94
	v_fmac_f32_e32 v94, 0x3f5db3d7, v52
	v_dual_mul_f32 v52, 0xbf5db3d7, v45 :: v_dual_mul_f32 v61, 0xbf5db3d7, v96
	s_delay_alu instid0(VALU_DEP_4) | instskip(NEXT) | instid1(VALU_DEP_2)
	v_dual_mul_f32 v45, 0.5, v45 :: v_dual_add_f32 v68, v42, v28
	v_dual_mul_f32 v63, -0.5, v96 :: v_dual_fmac_f32 v52, 0.5, v58
	s_delay_alu instid0(VALU_DEP_3) | instskip(SKIP_3) | instid1(VALU_DEP_4)
	v_fmac_f32_e32 v61, -0.5, v94
	v_mul_f32_e32 v66, v41, v22
	v_mul_f32_e32 v22, v79, v22
	v_fmac_f32_e32 v45, 0x3f5db3d7, v58
	v_dual_fmac_f32 v63, 0x3f5db3d7, v94 :: v_dual_add_f32 v76, v7, v61
	v_sub_f32_e32 v7, v7, v61
	v_dual_fmac_f32 v66, v79, v21 :: v_dual_add_f32 v79, v44, v59
	s_delay_alu instid0(VALU_DEP_4)
	v_add_f32_e32 v80, v51, v45
	v_sub_f32_e32 v45, v51, v45
	v_add_f32_e32 v51, v8, v53
	v_fma_f32 v41, v41, v21, -v22
	v_dual_sub_f32 v44, v44, v59 :: v_dual_add_f32 v59, v46, v60
	v_add_f32_e32 v58, v48, v52
	v_sub_f32_e32 v28, v42, v28
	v_sub_f32_e32 v42, v48, v52
	v_add_f32_e32 v48, v53, v70
	v_add_f32_e32 v52, v60, v64
	;; [unrolled: 1-line block ×3, first 2 shown]
	v_dual_sub_f32 v40, v40, v63 :: v_dual_add_f32 v61, v69, v73
	s_delay_alu instid0(VALU_DEP_4)
	v_fmac_f32_e32 v8, -0.5, v48
	v_sub_f32_e32 v48, v60, v64
	v_fmac_f32_e32 v46, -0.5, v52
	v_sub_f32_e32 v52, v53, v70
	v_add_f32_e32 v63, v87, v62
	ds_load_2addr_b32 v[21:22], v29 offset0:32 offset1:176
	v_fmamk_f32 v53, v48, 0xbf5db3d7, v8
	v_fmac_f32_e32 v8, 0x3f5db3d7, v48
	v_dual_add_f32 v48, v62, v65 :: v_dual_add_f32 v59, v59, v64
	v_fmamk_f32 v60, v52, 0x3f5db3d7, v46
	v_add_f32_e32 v64, v67, v69
	v_fmac_f32_e32 v67, -0.5, v61
	s_delay_alu instid0(VALU_DEP_4) | instskip(SKIP_2) | instid1(VALU_DEP_3)
	v_dual_fmac_f32 v87, -0.5, v48 :: v_dual_sub_f32 v48, v69, v73
	v_dual_sub_f32 v61, v62, v65 :: v_dual_fmac_f32 v46, 0xbf5db3d7, v52
	v_add_f32_e32 v51, v51, v70
	v_dual_add_f32 v63, v63, v65 :: v_dual_fmamk_f32 v52, v48, 0x3f5db3d7, v87
	s_delay_alu instid0(VALU_DEP_3) | instskip(SKIP_2) | instid1(VALU_DEP_4)
	v_fmamk_f32 v62, v61, 0xbf5db3d7, v67
	v_fmac_f32_e32 v67, 0x3f5db3d7, v61
	v_dual_fmac_f32 v87, 0xbf5db3d7, v48 :: v_dual_add_f32 v48, v64, v73
	v_mul_f32_e32 v61, 0xbf5db3d7, v52
	v_mul_f32_e32 v52, 0.5, v52
	v_add_f32_e32 v82, v59, v63
	s_delay_alu instid0(VALU_DEP_4) | instskip(SKIP_3) | instid1(VALU_DEP_4)
	v_mul_f32_e32 v65, -0.5, v87
	v_add_f32_e32 v69, v51, v48
	v_fmac_f32_e32 v61, 0.5, v62
	v_fmac_f32_e32 v52, 0x3f5db3d7, v62
	v_dual_sub_f32 v48, v51, v48 :: v_dual_fmac_f32 v65, 0x3f5db3d7, v67
	global_wb scope:SCOPE_SE
	s_wait_dscnt 0x0
	v_dual_add_f32 v62, v53, v61 :: v_dual_add_f32 v83, v60, v52
	v_sub_f32_e32 v51, v53, v61
	v_sub_f32_e32 v53, v59, v63
	v_add_f32_e32 v59, v72, v74
	v_dual_sub_f32 v85, v60, v52 :: v_dual_add_f32 v60, v49, v23
	v_dual_add_f32 v52, v5, v72 :: v_dual_add_f32 v63, v66, v77
	s_delay_alu instid0(VALU_DEP_3) | instskip(SKIP_4) | instid1(VALU_DEP_4)
	v_fma_f32 v5, -0.5, v59, v5
	v_sub_f32_e32 v59, v49, v23
	v_add_f32_e32 v49, v21, v49
	v_fma_f32 v21, -0.5, v60, v21
	v_sub_f32_e32 v60, v72, v74
	v_dual_add_f32 v84, v46, v65 :: v_dual_fmamk_f32 v61, v59, 0xbf5db3d7, v5
	s_delay_alu instid0(VALU_DEP_4) | instskip(SKIP_1) | instid1(VALU_DEP_4)
	v_add_f32_e32 v23, v49, v23
	v_fmac_f32_e32 v5, 0x3f5db3d7, v59
	v_fmamk_f32 v49, v60, 0x3f5db3d7, v21
	v_dual_fmac_f32 v21, 0xbf5db3d7, v60 :: v_dual_mul_f32 v64, 0xbf5db3d7, v87
	v_dual_add_f32 v59, v41, v24 :: v_dual_sub_f32 v46, v46, v65
	v_add_f32_e32 v65, v71, v66
	v_fmac_f32_e32 v71, -0.5, v63
	s_delay_alu instid0(VALU_DEP_4)
	v_fmac_f32_e32 v64, -0.5, v67
	v_add_f32_e32 v52, v52, v74
	s_barrier_signal -1
	s_barrier_wait -1
	global_inv scope:SCOPE_SE
	v_add_f32_e32 v67, v8, v64
	v_sub_f32_e32 v8, v8, v64
	v_add_f32_e32 v64, v50, v41
	v_dual_fmac_f32 v50, -0.5, v59 :: v_dual_sub_f32 v59, v66, v77
	v_sub_f32_e32 v41, v41, v24
	ds_store_2addr_b32 v17, v68, v58 offset1:6
	ds_store_2addr_b32 v17, v76, v28 offset0:12 offset1:18
	v_add_f32_e32 v24, v64, v24
	v_lshlrev_b32_e32 v28, 2, v90
	v_fmamk_f32 v60, v59, 0x3f5db3d7, v50
	v_dual_fmac_f32 v50, 0xbf5db3d7, v59 :: v_dual_add_f32 v59, v65, v77
	v_fmamk_f32 v63, v41, 0xbf5db3d7, v71
	v_dual_fmac_f32 v71, 0x3f5db3d7, v41 :: v_dual_add_f32 v86, v23, v24
	s_delay_alu instid0(VALU_DEP_3) | instskip(SKIP_4) | instid1(VALU_DEP_4)
	v_mul_f32_e32 v65, 0xbf5db3d7, v50
	v_dual_mul_f32 v50, -0.5, v50 :: v_dual_sub_f32 v23, v23, v24
	v_add_f32_e32 v24, v56, v43
	v_and_b32_e32 v90, 0xffff, v16
	v_mul_f32_e32 v41, 0xbf5db3d7, v60
	v_fmac_f32_e32 v50, 0x3f5db3d7, v71
	v_mul_f32_e32 v60, 0.5, v60
	v_add_f32_e32 v64, v52, v59
	v_dual_sub_f32 v52, v52, v59 :: v_dual_add_f32 v59, v6, v56
	s_delay_alu instid0(VALU_DEP_4)
	v_add_f32_e32 v92, v21, v50
	v_dual_sub_f32 v21, v21, v50 :: v_dual_fmac_f32 v6, -0.5, v24
	v_sub_f32_e32 v24, v57, v27
	v_mul_u32_u24_e32 v16, 5, v90
	v_dual_add_f32 v50, v57, v27 :: v_dual_add_f32 v57, v22, v57
	v_add_f32_e32 v59, v59, v43
	v_sub_f32_e32 v43, v56, v43
	s_delay_alu instid0(VALU_DEP_3)
	v_dual_fmac_f32 v65, -0.5, v71 :: v_dual_fmac_f32 v22, -0.5, v50
	v_fmamk_f32 v50, v24, 0xbf5db3d7, v6
	v_fmac_f32_e32 v60, 0x3f5db3d7, v63
	v_fmac_f32_e32 v6, 0x3f5db3d7, v24
	v_add_f32_e32 v24, v25, v39
	v_add_f32_e32 v27, v57, v27
	;; [unrolled: 1-line block ×4, first 2 shown]
	v_dual_sub_f32 v49, v49, v60 :: v_dual_add_f32 v60, v55, v25
	v_dual_fmac_f32 v55, -0.5, v24 :: v_dual_sub_f32 v24, v47, v26
	v_fmamk_f32 v56, v43, 0x3f5db3d7, v22
	v_add_f32_e32 v47, v75, v47
	v_fmac_f32_e32 v75, -0.5, v57
	v_sub_f32_e32 v25, v25, v39
	v_fmac_f32_e32 v22, 0xbf5db3d7, v43
	v_fmamk_f32 v43, v24, 0x3f5db3d7, v55
	v_dual_fmac_f32 v55, 0xbf5db3d7, v24 :: v_dual_add_f32 v24, v47, v26
	s_delay_alu instid0(VALU_DEP_4) | instskip(SKIP_1) | instid1(VALU_DEP_4)
	v_fmamk_f32 v26, v25, 0xbf5db3d7, v75
	v_fmac_f32_e32 v75, 0x3f5db3d7, v25
	v_mul_f32_e32 v25, 0xbf5db3d7, v43
	v_mul_f32_e32 v43, 0.5, v43
	v_add_f32_e32 v39, v60, v39
	v_mul_f32_e32 v47, 0xbf5db3d7, v55
	ds_store_2addr_b32 v17, v42, v7 offset0:24 offset1:30
	v_mul_lo_u16 v7, v14, 57
	v_fmac_f32_e32 v43, 0x3f5db3d7, v26
	v_dual_fmac_f32 v41, 0.5, v63 :: v_dual_add_f32 v66, v5, v65
	v_add_f32_e32 v93, v27, v39
	s_delay_alu instid0(VALU_DEP_3)
	v_dual_fmac_f32 v25, 0.5, v26 :: v_dual_add_f32 v94, v56, v43
	v_sub_f32_e32 v27, v27, v39
	v_sub_f32_e32 v39, v56, v43
	v_lshlrev_b32_e32 v43, 2, v91
	v_fmac_f32_e32 v47, -0.5, v75
	v_lshrrev_b16 v7, 11, v7
	v_add_f32_e32 v63, v61, v41
	v_add3_u32 v20, 0, v20, v28
	v_sub_f32_e32 v41, v61, v41
	v_sub_f32_e32 v5, v5, v65
	v_dual_add_f32 v57, v59, v24 :: v_dual_add_f32 v26, v50, v25
	v_add3_u32 v19, 0, v19, v43
	v_add_f32_e32 v60, v6, v47
	v_dual_sub_f32 v24, v59, v24 :: v_dual_sub_f32 v25, v50, v25
	v_sub_f32_e32 v6, v6, v47
	ds_store_2addr_b32 v18, v69, v62 offset1:6
	ds_store_2addr_b32 v18, v67, v48 offset0:12 offset1:18
	ds_store_2addr_b32 v18, v51, v8 offset0:24 offset1:30
	ds_store_2addr_b32 v20, v64, v63 offset1:6
	ds_store_2addr_b32 v20, v66, v52 offset0:12 offset1:18
	ds_store_2addr_b32 v20, v41, v5 offset0:24 offset1:30
	;; [unrolled: 3-line block ×3, first 2 shown]
	v_mul_lo_u16 v8, v7, 36
	v_mul_f32_e32 v55, -0.5, v55
	global_wb scope:SCOPE_SE
	s_wait_dscnt 0x0
	s_barrier_signal -1
	s_barrier_wait -1
	v_sub_nc_u16 v8, v54, v8
	v_fmac_f32_e32 v55, 0x3f5db3d7, v75
	global_inv scope:SCOPE_SE
	ds_load_2addr_b32 v[51:52], v0 offset1:144
	ds_load_2addr_b32 v[59:60], v11 offset0:64 offset1:208
	ds_load_2addr_b32 v[61:62], v34 offset1:144
	ds_load_2addr_b32 v[63:64], v31 offset0:64 offset1:208
	;; [unrolled: 2-line block ×3, first 2 shown]
	ds_load_2addr_b32 v[5:6], v29 offset0:32 offset1:176
	ds_load_2addr_b32 v[69:70], v32 offset0:96 offset1:240
	;; [unrolled: 1-line block ×6, first 2 shown]
	v_dual_add_f32 v95, v22, v55 :: v_dual_and_b32 v8, 0xff, v8
	v_sub_f32_e32 v22, v22, v55
	global_wb scope:SCOPE_SE
	s_wait_dscnt 0x0
	s_barrier_signal -1
	v_mul_u32_u24_e32 v14, 5, v8
	s_barrier_wait -1
	global_inv scope:SCOPE_SE
	ds_store_2addr_b32 v17, v79, v80 offset1:6
	ds_store_2addr_b32 v17, v81, v44 offset0:12 offset1:18
	ds_store_2addr_b32 v17, v45, v40 offset0:24 offset1:30
	ds_store_2addr_b32 v18, v82, v83 offset1:6
	ds_store_2addr_b32 v18, v84, v53 offset0:12 offset1:18
	ds_store_2addr_b32 v18, v85, v46 offset0:24 offset1:30
	ds_store_2addr_b32 v20, v86, v87 offset1:6
	ds_store_2addr_b32 v20, v92, v23 offset0:12 offset1:18
	v_lshlrev_b32_e32 v43, 3, v14
	ds_store_2addr_b32 v20, v49, v21 offset0:24 offset1:30
	ds_store_2addr_b32 v19, v93, v94 offset1:6
	ds_store_2addr_b32 v19, v95, v27 offset0:12 offset1:18
	ds_store_2addr_b32 v19, v39, v22 offset0:24 offset1:30
	global_wb scope:SCOPE_SE
	s_wait_dscnt 0x0
	s_barrier_signal -1
	s_barrier_wait -1
	global_inv scope:SCOPE_SE
	global_load_b128 v[17:20], v43, s[8:9] offset:240
	v_mul_lo_u16 v14, v13, 36
	v_mul_lo_u16 v45, v15, 36
	v_lshlrev_b32_e32 v87, 3, v16
	s_delay_alu instid0(VALU_DEP_3) | instskip(NEXT) | instid1(VALU_DEP_3)
	v_sub_nc_u16 v14, v9, v14
	v_sub_nc_u16 v12, v12, v45
	s_delay_alu instid0(VALU_DEP_2) | instskip(NEXT) | instid1(VALU_DEP_2)
	v_and_b32_e32 v14, 0xffff, v14
	v_and_b32_e32 v53, 0xffff, v12
	s_delay_alu instid0(VALU_DEP_2) | instskip(NEXT) | instid1(VALU_DEP_2)
	v_mul_u32_u24_e32 v21, 5, v14
	v_mul_u32_u24_e32 v12, 5, v53
	s_delay_alu instid0(VALU_DEP_2)
	v_lshlrev_b32_e32 v44, 3, v21
	s_clause 0x4
	global_load_b128 v[21:24], v44, s[8:9] offset:240
	global_load_b128 v[25:28], v43, s[8:9] offset:256
	;; [unrolled: 1-line block ×3, first 2 shown]
	global_load_b64 v[79:80], v43, s[8:9] offset:272
	global_load_b64 v[81:82], v44, s[8:9] offset:272
	v_lshlrev_b32_e32 v55, 3, v12
	global_load_b128 v[43:46], v55, s[8:9] offset:240
	ds_load_2addr_b32 v[11:12], v11 offset0:64 offset1:208
	ds_load_2addr_b32 v[83:84], v34 offset1:144
	s_clause 0x2
	global_load_b128 v[47:50], v55, s[8:9] offset:256
	global_load_b64 v[85:86], v55, s[8:9] offset:272
	global_load_b128 v[55:58], v87, s[8:9] offset:240
	s_wait_loadcnt_dscnt 0x901
	v_mul_f32_e32 v91, v11, v18
	v_mul_f32_e32 v16, v59, v18
	s_wait_dscnt 0x0
	v_mul_f32_e32 v92, v83, v20
	s_delay_alu instid0(VALU_DEP_3) | instskip(NEXT) | instid1(VALU_DEP_3)
	v_dual_mul_f32 v18, v61, v20 :: v_dual_fmac_f32 v91, v59, v17
	v_fma_f32 v59, v11, v17, -v16
	s_delay_alu instid0(VALU_DEP_3) | instskip(NEXT) | instid1(VALU_DEP_3)
	v_fmac_f32_e32 v92, v61, v19
	v_fma_f32 v61, v83, v19, -v18
	s_clause 0x1
	global_load_b128 v[16:19], v87, s[8:9] offset:256
	global_load_b64 v[87:88], v87, s[8:9] offset:272
	s_wait_loadcnt 0xa
	v_mul_f32_e32 v83, v12, v22
	v_dual_mul_f32 v11, v60, v22 :: v_dual_mul_f32 v22, v62, v24
	s_delay_alu instid0(VALU_DEP_2) | instskip(NEXT) | instid1(VALU_DEP_2)
	v_fmac_f32_e32 v83, v60, v21
	v_fma_f32 v93, v12, v21, -v11
	ds_load_2addr_b32 v[20:21], v35 offset1:144
	v_mul_f32_e32 v60, v84, v24
	ds_load_2addr_b32 v[11:12], v31 offset0:64 offset1:208
	s_wait_loadcnt 0x9
	v_mul_f32_e32 v24, v63, v26
	v_fmac_f32_e32 v60, v62, v23
	v_fma_f32 v62, v84, v23, -v22
	ds_load_2addr_b32 v[22:23], v33 offset0:64 offset1:208
	s_wait_dscnt 0x2
	v_mul_f32_e32 v94, v20, v28
	s_wait_dscnt 0x1
	v_mul_f32_e32 v84, v11, v26
	s_delay_alu instid0(VALU_DEP_2)
	v_fmac_f32_e32 v94, v65, v27
	v_mul_f32_e32 v26, v65, v28
	v_fma_f32 v28, v11, v25, -v24
	s_wait_loadcnt 0x8
	v_mul_f32_e32 v65, v12, v40
	v_mul_f32_e32 v11, v64, v40
	s_wait_loadcnt_dscnt 0x700
	v_mul_f32_e32 v96, v22, v80
	v_fmac_f32_e32 v84, v63, v25
	v_fma_f32 v63, v20, v27, -v26
	v_fmac_f32_e32 v65, v64, v39
	v_fma_f32 v95, v12, v39, -v11
	v_mul_f32_e32 v39, v67, v80
	ds_load_2addr_b32 v[24:25], v32 offset0:96 offset1:240
	v_mul_f32_e32 v64, v21, v42
	ds_load_2addr_b32 v[11:12], v36 offset0:32 offset1:176
	v_fmac_f32_e32 v96, v67, v79
	v_fma_f32 v67, v22, v79, -v39
	v_mul_f32_e32 v20, v66, v42
	v_fmac_f32_e32 v64, v66, v41
	ds_load_2addr_b32 v[26:27], v37 offset0:96 offset1:240
	s_wait_loadcnt 0x6
	v_mul_f32_e32 v80, v23, v82
	s_wait_loadcnt 0x5
	v_mul_f32_e32 v22, v69, v44
	v_fma_f32 v66, v21, v41, -v20
	ds_load_2addr_b32 v[20:21], v30 offset0:32 offset1:176
	v_mul_f32_e32 v41, v68, v82
	v_fmac_f32_e32 v80, v68, v81
	ds_load_2addr_b32 v[39:40], v38 offset0:96 offset1:240
	v_fma_f32 v68, v23, v81, -v41
	v_mul_f32_e32 v23, v71, v46
	s_wait_loadcnt 0x3
	v_mul_f32_e32 v41, v77, v86
	s_wait_dscnt 0x4
	v_mul_f32_e32 v79, v24, v44
	v_fma_f32 v24, v24, v43, -v22
	s_wait_dscnt 0x3
	v_mul_f32_e32 v44, v11, v46
	v_fma_f32 v11, v11, v45, -v23
	v_dual_mul_f32 v22, v73, v48 :: v_dual_mul_f32 v23, v75, v50
	s_delay_alu instid0(VALU_DEP_3) | instskip(SKIP_2) | instid1(VALU_DEP_3)
	v_dual_fmac_f32 v79, v69, v43 :: v_dual_fmac_f32 v44, v71, v45
	s_wait_dscnt 0x2
	v_mul_f32_e32 v43, v26, v48
	v_fma_f32 v26, v26, v47, -v22
	s_wait_loadcnt_dscnt 0x201
	v_dual_mul_f32 v48, v70, v56 :: v_dual_mul_f32 v45, v20, v50
	v_fma_f32 v20, v20, v49, -v23
	ds_load_2addr_b32 v[22:23], v0 offset1:144
	v_fmac_f32_e32 v43, v73, v47
	v_dual_mul_f32 v47, v25, v56 :: v_dual_mul_f32 v50, v72, v58
	v_fma_f32 v25, v25, v55, -v48
	v_fmac_f32_e32 v45, v75, v49
	v_mul_f32_e32 v49, v12, v58
	s_delay_alu instid0(VALU_DEP_4) | instskip(SKIP_1) | instid1(VALU_DEP_3)
	v_fmac_f32_e32 v47, v70, v55
	v_fma_f32 v12, v12, v57, -v50
	v_dual_fmac_f32 v49, v72, v57 :: v_dual_lshlrev_b32 v8, 2, v8
	s_wait_dscnt 0x0
	v_add_f32_e32 v55, v22, v61
	s_delay_alu instid0(VALU_DEP_1) | instskip(SKIP_3) | instid1(VALU_DEP_2)
	v_add_f32_e32 v55, v55, v63
	s_wait_loadcnt 0x1
	v_mul_f32_e32 v50, v21, v19
	v_dual_mul_f32 v19, v76, v19 :: v_dual_mul_f32 v48, v27, v17
	v_dual_mul_f32 v17, v74, v17 :: v_dual_fmac_f32 v50, v76, v18
	s_delay_alu instid0(VALU_DEP_2) | instskip(SKIP_2) | instid1(VALU_DEP_2)
	v_fma_f32 v18, v21, v18, -v19
	v_add_f32_e32 v21, v51, v92
	v_add_f32_e32 v19, v92, v94
	v_dual_add_f32 v21, v21, v94 :: v_dual_fmac_f32 v48, v74, v16
	v_fma_f32 v16, v27, v16, -v17
	s_wait_loadcnt 0x0
	v_mul_f32_e32 v27, v78, v88
	v_fma_f32 v19, -0.5, v19, v51
	v_sub_f32_e32 v51, v61, v63
	v_mul_f32_e32 v17, v40, v88
	v_add_f32_e32 v58, v84, v96
	v_fma_f32 v27, v40, v87, -v27
	v_add_f32_e32 v40, v61, v63
	v_fmamk_f32 v56, v51, 0xbf5db3d7, v19
	v_fmac_f32_e32 v19, 0x3f5db3d7, v51
	v_add_f32_e32 v51, v28, v67
	v_add_f32_e32 v61, v59, v28
	v_mul_f32_e32 v46, v39, v86
	v_fma_f32 v22, -0.5, v40, v22
	s_delay_alu instid0(VALU_DEP_4)
	v_dual_sub_f32 v40, v92, v94 :: v_dual_fmac_f32 v59, -0.5, v51
	v_add_f32_e32 v63, v91, v84
	v_fmac_f32_e32 v91, -0.5, v58
	v_sub_f32_e32 v51, v84, v96
	v_add_f32_e32 v61, v61, v67
	v_fmac_f32_e32 v46, v77, v85
	v_fmamk_f32 v57, v40, 0x3f5db3d7, v22
	v_sub_f32_e32 v28, v28, v67
	v_fmac_f32_e32 v22, 0xbf5db3d7, v40
	v_fmamk_f32 v40, v51, 0x3f5db3d7, v59
	v_fmac_f32_e32 v59, 0xbf5db3d7, v51
	v_add_f32_e32 v51, v63, v96
	v_add_f32_e32 v70, v55, v61
	v_sub_f32_e32 v73, v55, v61
	v_dual_add_f32 v55, v62, v66 :: v_dual_fmamk_f32 v58, v28, 0xbf5db3d7, v91
	v_fmac_f32_e32 v91, 0x3f5db3d7, v28
	v_mul_f32_e32 v28, 0xbf5db3d7, v40
	v_dual_mul_f32 v40, 0.5, v40 :: v_dual_add_f32 v67, v21, v51
	v_sub_f32_e32 v21, v21, v51
	v_add_f32_e32 v51, v60, v64
	v_mul_f32_e32 v63, 0xbf5db3d7, v59
	s_delay_alu instid0(VALU_DEP_4) | instskip(SKIP_2) | instid1(VALU_DEP_4)
	v_dual_fmac_f32 v40, 0x3f5db3d7, v58 :: v_dual_mul_f32 v59, -0.5, v59
	v_add_f32_e32 v61, v93, v95
	v_fma_f32 v39, v39, v85, -v41
	v_fmac_f32_e32 v63, -0.5, v91
	s_delay_alu instid0(VALU_DEP_4)
	v_add_f32_e32 v71, v57, v40
	v_sub_f32_e32 v74, v57, v40
	v_add_f32_e32 v40, v52, v60
	v_dual_fmac_f32 v52, -0.5, v51 :: v_dual_sub_f32 v51, v62, v66
	v_fmac_f32_e32 v59, 0x3f5db3d7, v91
	v_add_f32_e32 v69, v19, v63
	v_sub_f32_e32 v19, v19, v63
	ds_load_2addr_b32 v[41:42], v29 offset0:32 offset1:176
	v_fmamk_f32 v57, v51, 0xbf5db3d7, v52
	v_fmac_f32_e32 v28, 0.5, v58
	v_dual_fmac_f32 v52, 0x3f5db3d7, v51 :: v_dual_add_f32 v61, v61, v68
	v_dual_add_f32 v51, v95, v68 :: v_dual_add_f32 v72, v22, v59
	s_delay_alu instid0(VALU_DEP_3)
	v_add_f32_e32 v58, v56, v28
	v_sub_f32_e32 v28, v56, v28
	v_dual_add_f32 v56, v23, v62 :: v_dual_fmac_f32 v23, -0.5, v55
	v_sub_f32_e32 v55, v60, v64
	v_fmac_f32_e32 v93, -0.5, v51
	v_sub_f32_e32 v51, v65, v80
	v_add_f32_e32 v60, v65, v80
	s_delay_alu instid0(VALU_DEP_4) | instskip(SKIP_1) | instid1(VALU_DEP_4)
	v_dual_sub_f32 v22, v22, v59 :: v_dual_fmamk_f32 v59, v55, 0x3f5db3d7, v23
	v_fmac_f32_e32 v23, 0xbf5db3d7, v55
	v_fmamk_f32 v55, v51, 0x3f5db3d7, v93
	v_dual_fmac_f32 v93, 0xbf5db3d7, v51 :: v_dual_add_f32 v40, v40, v64
	v_fmac_f32_e32 v17, v78, v87
	global_wb scope:SCOPE_SE
	s_wait_dscnt 0x0
	s_barrier_signal -1
	v_mul_f32_e32 v63, 0xbf5db3d7, v93
	v_dual_add_f32 v62, v83, v65 :: v_dual_fmac_f32 v83, -0.5, v60
	v_sub_f32_e32 v60, v95, v68
	s_barrier_wait -1
	global_inv scope:SCOPE_SE
	v_dual_add_f32 v51, v62, v80 :: v_dual_fmamk_f32 v62, v60, 0xbf5db3d7, v83
	v_dual_fmac_f32 v83, 0x3f5db3d7, v60 :: v_dual_add_f32 v56, v56, v66
	v_mul_f32_e32 v60, 0xbf5db3d7, v55
	v_mul_f32_e32 v55, 0.5, v55
	s_delay_alu instid0(VALU_DEP_4) | instskip(NEXT) | instid1(VALU_DEP_4)
	v_add_f32_e32 v65, v40, v51
	v_fmac_f32_e32 v63, -0.5, v83
	v_sub_f32_e32 v77, v56, v61
	s_delay_alu instid0(VALU_DEP_4) | instskip(NEXT) | instid1(VALU_DEP_1)
	v_dual_add_f32 v68, v56, v61 :: v_dual_fmac_f32 v55, 0x3f5db3d7, v62
	v_dual_add_f32 v56, v44, v45 :: v_dual_add_f32 v75, v59, v55
	v_fmac_f32_e32 v60, 0.5, v62
	v_dual_sub_f32 v78, v59, v55 :: v_dual_add_f32 v59, v24, v26
	v_dual_add_f32 v55, v5, v44 :: v_dual_mul_f32 v64, -0.5, v93
	s_delay_alu instid0(VALU_DEP_3)
	v_add_f32_e32 v62, v57, v60
	v_fma_f32 v5, -0.5, v56, v5
	v_sub_f32_e32 v56, v11, v20
	v_dual_sub_f32 v40, v40, v51 :: v_dual_sub_f32 v51, v57, v60
	v_dual_fmac_f32 v64, 0x3f5db3d7, v83 :: v_dual_add_f32 v57, v11, v20
	v_add_f32_e32 v55, v55, v45
	v_dual_add_f32 v11, v41, v11 :: v_dual_sub_f32 v44, v44, v45
	s_delay_alu instid0(VALU_DEP_3) | instskip(NEXT) | instid1(VALU_DEP_4)
	v_dual_add_f32 v76, v23, v64 :: v_dual_fmamk_f32 v45, v56, 0xbf5db3d7, v5
	v_fma_f32 v41, -0.5, v57, v41
	v_dual_fmac_f32 v5, 0x3f5db3d7, v56 :: v_dual_add_f32 v56, v26, v39
	v_dual_add_f32 v57, v43, v46 :: v_dual_sub_f32 v26, v26, v39
	v_dual_add_f32 v66, v52, v63 :: v_dual_sub_f32 v23, v23, v64
	s_delay_alu instid0(VALU_DEP_3) | instskip(SKIP_4) | instid1(VALU_DEP_3)
	v_fmac_f32_e32 v24, -0.5, v56
	v_sub_f32_e32 v56, v43, v46
	v_add_f32_e32 v43, v79, v43
	v_dual_fmac_f32 v79, -0.5, v57 :: v_dual_sub_f32 v52, v52, v63
	v_dual_add_f32 v11, v11, v20 :: v_dual_fmamk_f32 v20, v44, 0x3f5db3d7, v41
	v_add_f32_e32 v43, v43, v46
	v_fmac_f32_e32 v41, 0xbf5db3d7, v44
	s_delay_alu instid0(VALU_DEP_4) | instskip(SKIP_3) | instid1(VALU_DEP_3)
	v_fmamk_f32 v46, v26, 0xbf5db3d7, v79
	v_dual_fmac_f32 v79, 0x3f5db3d7, v26 :: v_dual_fmamk_f32 v44, v56, 0x3f5db3d7, v24
	v_dual_add_f32 v39, v59, v39 :: v_dual_fmac_f32 v24, 0xbf5db3d7, v56
	v_add_f32_e32 v57, v55, v43
	v_dual_sub_f32 v43, v55, v43 :: v_dual_mul_f32 v26, 0xbf5db3d7, v44
	v_mul_f32_e32 v44, 0.5, v44
	s_delay_alu instid0(VALU_DEP_4) | instskip(SKIP_1) | instid1(VALU_DEP_2)
	v_mul_f32_e32 v56, 0xbf5db3d7, v24
	v_mul_f32_e32 v24, -0.5, v24
	v_fmac_f32_e32 v56, -0.5, v79
	s_delay_alu instid0(VALU_DEP_2) | instskip(SKIP_3) | instid1(VALU_DEP_4)
	v_fmac_f32_e32 v24, 0x3f5db3d7, v79
	v_add_f32_e32 v79, v11, v39
	v_sub_f32_e32 v11, v11, v39
	v_add_f32_e32 v39, v49, v50
	v_dual_fmac_f32 v44, 0x3f5db3d7, v46 :: v_dual_add_f32 v81, v41, v24
	v_dual_sub_f32 v24, v41, v24 :: v_dual_add_f32 v41, v12, v18
	s_delay_alu instid0(VALU_DEP_2) | instskip(SKIP_4) | instid1(VALU_DEP_3)
	v_add_f32_e32 v80, v20, v44
	v_sub_f32_e32 v20, v20, v44
	v_add_f32_e32 v44, v6, v49
	v_dual_fmac_f32 v6, -0.5, v39 :: v_dual_sub_f32 v39, v12, v18
	v_dual_fmac_f32 v26, 0.5, v46 :: v_dual_add_f32 v59, v5, v56
	v_dual_sub_f32 v5, v5, v56 :: v_dual_add_f32 v44, v44, v50
	v_add_f32_e32 v12, v42, v12
	s_delay_alu instid0(VALU_DEP_3)
	v_add_f32_e32 v46, v45, v26
	v_dual_sub_f32 v26, v45, v26 :: v_dual_fmamk_f32 v45, v39, 0xbf5db3d7, v6
	v_fmac_f32_e32 v6, 0x3f5db3d7, v39
	v_dual_add_f32 v39, v16, v27 :: v_dual_fmac_f32 v42, -0.5, v41
	v_sub_f32_e32 v41, v49, v50
	v_dual_add_f32 v49, v48, v17 :: v_dual_add_f32 v50, v25, v16
	s_delay_alu instid0(VALU_DEP_3)
	v_fmac_f32_e32 v25, -0.5, v39
	v_sub_f32_e32 v39, v48, v17
	v_add_f32_e32 v12, v12, v18
	v_fmamk_f32 v18, v41, 0x3f5db3d7, v42
	v_dual_add_f32 v48, v47, v48 :: v_dual_fmac_f32 v47, -0.5, v49
	v_sub_f32_e32 v16, v16, v27
	v_fmac_f32_e32 v42, 0xbf5db3d7, v41
	v_fmamk_f32 v41, v39, 0x3f5db3d7, v25
	v_fmac_f32_e32 v25, 0xbf5db3d7, v39
	s_delay_alu instid0(VALU_DEP_4) | instskip(SKIP_1) | instid1(VALU_DEP_4)
	v_fmamk_f32 v39, v16, 0xbf5db3d7, v47
	v_fmac_f32_e32 v47, 0x3f5db3d7, v16
	v_mul_f32_e32 v16, 0xbf5db3d7, v41
	v_mul_f32_e32 v41, 0.5, v41
	v_and_b32_e32 v7, 0xffff, v7
	s_delay_alu instid0(VALU_DEP_2) | instskip(SKIP_1) | instid1(VALU_DEP_3)
	v_fmac_f32_e32 v41, 0x3f5db3d7, v39
	v_add_f32_e32 v17, v48, v17
	v_mul_u32_u24_e32 v7, 0x360, v7
	v_mul_f32_e32 v48, 0xbf5db3d7, v25
	v_mul_f32_e32 v25, -0.5, v25
	v_add_f32_e32 v83, v18, v41
	v_add_f32_e32 v49, v44, v17
	;; [unrolled: 1-line block ×3, first 2 shown]
	v_add3_u32 v7, 0, v7, v8
	v_mul_u32_u24_e32 v8, 0x360, v13
	v_dual_fmac_f32 v16, 0.5, v39 :: v_dual_lshlrev_b32 v13, 2, v14
	v_fmac_f32_e32 v25, 0x3f5db3d7, v47
	v_mul_u32_u24_e32 v14, 0x360, v15
	v_lshlrev_b32_e32 v15, 2, v53
	ds_store_2addr_b32 v7, v67, v58 offset1:36
	ds_store_2addr_b32 v7, v69, v21 offset0:72 offset1:108
	v_add_f32_e32 v39, v45, v16
	v_sub_f32_e32 v16, v45, v16
	v_add_f32_e32 v82, v12, v27
	v_sub_f32_e32 v12, v12, v27
	v_add3_u32 v8, 0, v8, v13
	v_mul_u32_u24_e32 v13, 0x360, v89
	v_dual_fmac_f32 v48, -0.5, v47 :: v_dual_lshlrev_b32 v21, 2, v90
	v_sub_f32_e32 v17, v44, v17
	v_add3_u32 v14, 0, v14, v15
	v_add_f32_e32 v84, v42, v25
	s_delay_alu instid0(VALU_DEP_4)
	v_add3_u32 v13, 0, v13, v21
	v_add_f32_e32 v47, v6, v48
	v_sub_f32_e32 v6, v6, v48
	ds_store_2addr_b32 v7, v28, v19 offset0:144 offset1:180
	ds_store_2addr_b32 v8, v65, v62 offset1:36
	ds_store_2addr_b32 v8, v66, v40 offset0:72 offset1:108
	ds_store_2addr_b32 v8, v51, v52 offset0:144 offset1:180
	ds_store_2addr_b32 v14, v57, v46 offset1:36
	ds_store_2addr_b32 v14, v59, v43 offset0:72 offset1:108
	;; [unrolled: 3-line block ×3, first 2 shown]
	ds_store_2addr_b32 v13, v16, v6 offset0:144 offset1:180
	v_add_nc_u32_e32 v5, 0xffffffb8, v54
	v_lshl_add_u32 v39, v54, 2, 0
	v_sub_f32_e32 v18, v18, v41
	global_wb scope:SCOPE_SE
	s_wait_dscnt 0x0
	s_barrier_signal -1
	s_wait_alu 0xf1ff
	v_cndmask_b32_e64 v87, v5, v9, s0
	s_barrier_wait -1
	global_inv scope:SCOPE_SE
	ds_load_2addr_b32 v[27:28], v0 offset1:144
	ds_load_2addr_b32 v[40:41], v32 offset0:96 offset1:240
	ds_load_2addr_b32 v[48:49], v31 offset0:64 offset1:208
	ds_load_2addr_b32 v[50:51], v30 offset0:32 offset1:176
	ds_load_2addr_b32 v[52:53], v29 offset0:32 offset1:176
	ds_load_2addr_b32 v[55:56], v34 offset1:144
	ds_load_2addr_b32 v[57:58], v37 offset0:96 offset1:240
	ds_load_2addr_b32 v[59:60], v33 offset0:64 offset1:208
	;; [unrolled: 1-line block ×3, first 2 shown]
	ds_load_2addr_b32 v[63:64], v35 offset1:144
	ds_load_2addr_b32 v[65:66], v38 offset0:96 offset1:240
	ds_load_b32 v85, v0 offset:2304
	ds_load_b32 v86, v39 offset:2880
	global_wb scope:SCOPE_SE
	s_wait_dscnt 0x0
	s_barrier_signal -1
	s_barrier_wait -1
	global_inv scope:SCOPE_SE
	ds_store_2addr_b32 v7, v70, v71 offset1:36
	ds_store_2addr_b32 v7, v72, v73 offset0:72 offset1:108
	ds_store_2addr_b32 v7, v74, v22 offset0:144 offset1:180
	ds_store_2addr_b32 v8, v68, v75 offset1:36
	ds_store_2addr_b32 v8, v76, v77 offset0:72 offset1:108
	ds_store_2addr_b32 v8, v78, v23 offset0:144 offset1:180
	ds_store_2addr_b32 v14, v79, v80 offset1:36
	v_mul_u32_u24_e32 v7, 3, v54
	v_mul_i32_i24_e32 v5, 3, v87
	v_lshrrev_b16 v9, 3, v10
	v_dual_mov_b32 v6, 0 :: v_dual_sub_f32 v25, v42, v25
	s_delay_alu instid0(VALU_DEP_4)
	v_lshlrev_b32_e32 v43, 3, v7
	v_add_nc_u16 v23, v54, 0x240
	ds_store_2addr_b32 v14, v81, v11 offset0:72 offset1:108
	ds_store_2addr_b32 v14, v20, v24 offset0:144 offset1:180
	ds_store_2addr_b32 v13, v82, v83 offset1:36
	v_lshlrev_b64_e32 v[7:8], 3, v[5:6]
	v_and_b32_e32 v5, 0xffff, v9
	ds_store_2addr_b32 v13, v84, v12 offset0:72 offset1:108
	ds_store_2addr_b32 v13, v18, v25 offset0:144 offset1:180
	global_wb scope:SCOPE_SE
	s_wait_dscnt 0x0
	s_barrier_signal -1
	s_barrier_wait -1
	v_mul_u32_u24_e32 v5, 0x12f7, v5
	global_inv scope:SCOPE_SE
	s_clause 0x1
	global_load_b128 v[11:14], v43, s[8:9] offset:1680
	global_load_b64 v[67:68], v43, s[8:9] offset:1696
	v_lshrrev_b16 v9, 3, v23
	v_lshrrev_b32_e32 v5, 17, v5
	v_add_co_u32 v7, s0, s8, v7
	s_wait_alu 0xf1ff
	v_add_co_ci_u32_e64 v8, s0, s9, v8, s0
	s_delay_alu instid0(VALU_DEP_3)
	v_mul_lo_u16 v5, 0xd8, v5
	v_and_b32_e32 v9, 0xffff, v9
	v_add_nc_u32_e32 v42, 0x2d0, v54
	s_clause 0x1
	global_load_b128 v[15:18], v[7:8], off offset:1680
	global_load_b64 v[69:70], v[7:8], off offset:1696
	v_sub_nc_u16 v5, v10, v5
	v_mul_u32_u24_e32 v19, 0x12f7, v9
	v_lshrrev_b16 v20, 3, v42
	s_clause 0x1
	global_load_b128 v[7:10], v43, s[8:9] offset:3408
	global_load_b64 v[71:72], v43, s[8:9] offset:3424
	v_and_b32_e32 v5, 0xffff, v5
	v_lshrrev_b32_e32 v88, 17, v19
	v_and_b32_e32 v19, 0xffff, v20
	v_cmp_lt_u32_e64 s0, 0x47, v54
	s_delay_alu instid0(VALU_DEP_4) | instskip(NEXT) | instid1(VALU_DEP_4)
	v_mul_u32_u24_e32 v21, 3, v5
	v_mul_lo_u16 v25, 0xd8, v88
	s_delay_alu instid0(VALU_DEP_4) | instskip(NEXT) | instid1(VALU_DEP_3)
	v_mul_u32_u24_e32 v26, 0x12f7, v19
	v_lshlrev_b32_e32 v24, 3, v21
	s_delay_alu instid0(VALU_DEP_3) | instskip(NEXT) | instid1(VALU_DEP_3)
	v_sub_nc_u16 v23, v23, v25
	v_lshrrev_b32_e32 v25, 17, v26
	s_clause 0x1
	global_load_b128 v[19:22], v24, s[8:9] offset:1680
	global_load_b64 v[73:74], v24, s[8:9] offset:1696
	v_and_b32_e32 v89, 0xffff, v23
	v_mul_lo_u16 v23, 0xd8, v25
	s_delay_alu instid0(VALU_DEP_2) | instskip(NEXT) | instid1(VALU_DEP_2)
	v_mul_u32_u24_e32 v25, 3, v89
	v_sub_nc_u16 v23, v42, v23
	s_delay_alu instid0(VALU_DEP_2) | instskip(NEXT) | instid1(VALU_DEP_2)
	v_lshlrev_b32_e32 v44, 3, v25
	v_and_b32_e32 v90, 0xffff, v23
	s_clause 0x1
	global_load_b128 v[23:26], v44, s[8:9] offset:1680
	global_load_b64 v[75:76], v44, s[8:9] offset:1696
	v_mul_u32_u24_e32 v45, 3, v90
	s_delay_alu instid0(VALU_DEP_1)
	v_lshlrev_b32_e32 v77, 3, v45
	s_clause 0x1
	global_load_b128 v[44:47], v77, s[8:9] offset:1680
	global_load_b64 v[77:78], v77, s[8:9] offset:1696
	ds_load_2addr_b32 v[79:80], v32 offset0:96 offset1:240
	ds_load_2addr_b32 v[81:82], v31 offset0:64 offset1:208
	ds_load_2addr_b32 v[83:84], v30 offset0:32 offset1:176
	s_wait_loadcnt_dscnt 0xb02
	v_mul_f32_e32 v91, v79, v12
	v_mul_f32_e32 v12, v40, v12
	s_wait_dscnt 0x1
	v_mul_f32_e32 v92, v81, v14
	v_mul_f32_e32 v14, v48, v14
	v_lshl_add_u32 v5, v5, 2, 0
	v_fmac_f32_e32 v91, v40, v11
	v_fma_f32 v79, v79, v11, -v12
	v_fmac_f32_e32 v92, v48, v13
	v_fma_f32 v48, v81, v13, -v14
	ds_load_2addr_b32 v[11:12], v34 offset1:144
	ds_load_2addr_b32 v[13:14], v37 offset0:96 offset1:240
	s_wait_loadcnt 0x9
	v_mul_f32_e32 v81, v80, v16
	v_dual_mul_f32 v16, v41, v16 :: v_dual_mul_f32 v93, v82, v18
	s_delay_alu instid0(VALU_DEP_2) | instskip(NEXT) | instid1(VALU_DEP_2)
	v_dual_mul_f32 v40, v50, v68 :: v_dual_fmac_f32 v81, v41, v15
	v_fma_f32 v80, v80, v15, -v16
	v_mul_f32_e32 v15, v49, v18
	s_delay_alu instid0(VALU_DEP_4) | instskip(SKIP_2) | instid1(VALU_DEP_3)
	v_fmac_f32_e32 v93, v49, v17
	s_wait_dscnt 0x2
	v_mul_f32_e32 v49, v83, v68
	v_fma_f32 v68, v82, v17, -v15
	s_wait_loadcnt 0x8
	s_delay_alu instid0(VALU_DEP_2)
	v_dual_mul_f32 v82, v84, v70 :: v_dual_fmac_f32 v49, v50, v67
	v_fma_f32 v50, v83, v67, -v40
	v_mul_f32_e32 v67, v51, v70
	ds_load_2addr_b32 v[15:16], v0 offset1:144
	ds_load_2addr_b32 v[17:18], v33 offset0:64 offset1:208
	v_fmac_f32_e32 v82, v51, v69
	ds_load_2addr_b32 v[40:41], v36 offset0:32 offset1:176
	s_wait_loadcnt_dscnt 0x504
	v_mul_f32_e32 v70, v12, v20
	v_mul_f32_e32 v51, v11, v8
	;; [unrolled: 1-line block ×3, first 2 shown]
	v_fma_f32 v67, v84, v69, -v67
	s_wait_dscnt 0x3
	v_mul_f32_e32 v69, v13, v10
	v_mul_f32_e32 v10, v57, v10
	v_fmac_f32_e32 v70, v56, v19
	v_fmac_f32_e32 v51, v55, v7
	v_fma_f32 v55, v11, v7, -v8
	v_fmac_f32_e32 v69, v57, v9
	v_fma_f32 v13, v13, v9, -v10
	ds_load_2addr_b32 v[7:8], v35 offset1:144
	ds_load_2addr_b32 v[9:10], v38 offset0:96 offset1:240
	v_dual_mul_f32 v11, v56, v20 :: v_dual_mul_f32 v20, v14, v22
	v_mul_f32_e32 v22, v58, v22
	s_wait_dscnt 0x3
	v_mul_f32_e32 v56, v17, v72
	s_delay_alu instid0(VALU_DEP_3) | instskip(NEXT) | instid1(VALU_DEP_3)
	v_dual_mul_f32 v57, v59, v72 :: v_dual_fmac_f32 v20, v58, v21
	v_fma_f32 v14, v14, v21, -v22
	s_wait_loadcnt 0x4
	v_mul_f32_e32 v22, v60, v74
	v_dual_mul_f32 v21, v18, v74 :: v_dual_fmac_f32 v56, v59, v71
	v_fma_f32 v17, v17, v71, -v57
	v_fma_f32 v19, v12, v19, -v11
	s_delay_alu instid0(VALU_DEP_4) | instskip(NEXT) | instid1(VALU_DEP_4)
	v_fma_f32 v18, v18, v73, -v22
	v_fmac_f32_e32 v21, v60, v73
	s_wait_loadcnt_dscnt 0x302
	v_mul_f32_e32 v22, v40, v24
	ds_load_2addr_b32 v[11:12], v29 offset0:32 offset1:176
	v_dual_sub_f32 v17, v55, v17 :: v_dual_sub_f32 v20, v53, v20
	s_wait_dscnt 0x2
	v_dual_mul_f32 v57, v7, v26 :: v_dual_mul_f32 v24, v61, v24
	s_wait_loadcnt_dscnt 0x201
	v_dual_mul_f32 v26, v63, v26 :: v_dual_mul_f32 v59, v9, v76
	ds_load_b32 v58, v0 offset:2304
	ds_load_b32 v72, v39 offset:2880
	v_fmac_f32_e32 v57, v63, v25
	v_fma_f32 v55, v55, 2.0, -v17
	v_fma_f32 v7, v7, v25, -v26
	s_wait_loadcnt 0x1
	v_dual_fmac_f32 v59, v65, v75 :: v_dual_mul_f32 v26, v62, v45
	v_mul_f32_e32 v25, v41, v45
	v_fmac_f32_e32 v22, v61, v23
	v_fma_f32 v23, v40, v23, -v24
	v_dual_mul_f32 v24, v65, v76 :: v_dual_mul_f32 v45, v64, v47
	s_delay_alu instid0(VALU_DEP_4) | instskip(SKIP_1) | instid1(VALU_DEP_3)
	v_dual_mul_f32 v40, v8, v47 :: v_dual_fmac_f32 v25, v62, v44
	v_dual_sub_f32 v47, v79, v50 :: v_dual_sub_f32 v50, v16, v68
	v_fma_f32 v9, v9, v75, -v24
	v_fma_f32 v24, v41, v44, -v26
	s_wait_loadcnt 0x0
	v_dual_sub_f32 v26, v27, v92 :: v_dual_mul_f32 v41, v10, v78
	v_sub_f32_e32 v44, v91, v49
	v_fmac_f32_e32 v40, v64, v46
	v_fma_f32 v8, v8, v46, -v45
	v_mul_f32_e32 v45, v66, v78
	v_dual_fmac_f32 v41, v66, v77 :: v_dual_sub_f32 v46, v15, v48
	v_sub_f32_e32 v49, v28, v93
	v_fma_f32 v27, v27, 2.0, -v26
	v_fma_f32 v48, v91, 2.0, -v44
	v_fma_f32 v10, v10, v77, -v45
	v_fma_f32 v15, v15, 2.0, -v46
	v_fma_f32 v45, v79, 2.0, -v47
	s_delay_alu instid0(VALU_DEP_4) | instskip(SKIP_2) | instid1(VALU_DEP_4)
	v_dual_sub_f32 v61, v80, v67 :: v_dual_sub_f32 v48, v27, v48
	v_sub_f32_e32 v60, v81, v82
	v_fma_f32 v16, v16, 2.0, -v50
	v_sub_f32_e32 v45, v15, v45
	s_delay_alu instid0(VALU_DEP_4)
	v_fma_f32 v63, v80, 2.0, -v61
	s_wait_dscnt 0x2
	v_sub_f32_e32 v13, v11, v13
	v_fma_f32 v28, v28, 2.0, -v49
	v_fma_f32 v62, v81, 2.0, -v60
	v_sub_f32_e32 v60, v50, v60
	v_dual_sub_f32 v44, v46, v44 :: v_dual_sub_f32 v63, v16, v63
	v_fma_f32 v11, v11, 2.0, -v13
	s_delay_alu instid0(VALU_DEP_4) | instskip(SKIP_1) | instid1(VALU_DEP_4)
	v_dual_add_f32 v47, v26, v47 :: v_dual_sub_f32 v62, v28, v62
	v_dual_sub_f32 v21, v70, v21 :: v_dual_sub_f32 v14, v12, v14
	v_fma_f32 v65, v16, 2.0, -v63
	s_delay_alu instid0(VALU_DEP_4) | instskip(SKIP_3) | instid1(VALU_DEP_4)
	v_dual_sub_f32 v16, v52, v69 :: v_dual_sub_f32 v55, v11, v55
	v_sub_f32_e32 v18, v19, v18
	v_fma_f32 v64, v15, 2.0, -v45
	v_fma_f32 v15, v26, 2.0, -v47
	v_add_f32_e32 v17, v16, v17
	v_fma_f32 v26, v28, 2.0, -v62
	v_fma_f32 v52, v52, 2.0, -v16
	v_sub_f32_e32 v28, v51, v56
	v_fma_f32 v12, v12, 2.0, -v14
	v_fma_f32 v19, v19, 2.0, -v18
	s_wait_dscnt 0x1
	v_dual_add_f32 v56, v49, v61 :: v_dual_sub_f32 v7, v58, v7
	v_fma_f32 v51, v51, 2.0, -v28
	v_fma_f32 v53, v53, 2.0, -v20
	;; [unrolled: 1-line block ×3, first 2 shown]
	v_dual_sub_f32 v68, v12, v19 :: v_dual_sub_f32 v9, v23, v9
	v_sub_f32_e32 v10, v24, v10
	v_dual_sub_f32 v51, v52, v51 :: v_dual_sub_f32 v66, v13, v28
	v_sub_f32_e32 v19, v22, v59
	s_delay_alu instid0(VALU_DEP_4) | instskip(NEXT) | instid1(VALU_DEP_4)
	v_fma_f32 v23, v23, 2.0, -v9
	v_fma_f32 v24, v24, 2.0, -v10
	v_sub_f32_e32 v28, v53, v61
	v_fma_f32 v61, v11, 2.0, -v55
	v_fma_f32 v11, v16, 2.0, -v17
	v_add_f32_e32 v16, v20, v18
	v_sub_f32_e32 v18, v85, v57
	v_fma_f32 v57, v58, 2.0, -v7
	v_fma_f32 v58, v12, 2.0, -v68
	;; [unrolled: 1-line block ×4, first 2 shown]
	s_delay_alu instid0(VALU_DEP_4) | instskip(SKIP_3) | instid1(VALU_DEP_4)
	v_dual_sub_f32 v20, v86, v40 :: v_dual_sub_f32 v69, v57, v23
	v_fma_f32 v22, v22, 2.0, -v19
	v_sub_f32_e32 v70, v7, v19
	v_fma_f32 v27, v27, 2.0, -v48
	v_fma_f32 v23, v86, 2.0, -v20
	s_wait_dscnt 0x0
	v_sub_f32_e32 v8, v72, v8
	v_add_nc_u32_e32 v76, 0x680, v0
	v_fma_f32 v49, v49, 2.0, -v56
	global_wb scope:SCOPE_SE
	s_barrier_signal -1
	v_fma_f32 v40, v72, 2.0, -v8
	v_fma_f32 v72, v7, 2.0, -v70
	s_barrier_wait -1
	global_inv scope:SCOPE_SE
	v_fma_f32 v52, v52, 2.0, -v51
	v_sub_f32_e32 v71, v40, v24
	v_fma_f32 v13, v53, 2.0, -v28
	v_sub_f32_e32 v53, v14, v21
	v_fma_f32 v21, v85, 2.0, -v18
	v_fma_f32 v46, v46, 2.0, -v44
	;; [unrolled: 1-line block ×5, first 2 shown]
	v_sub_f32_e32 v14, v21, v22
	v_sub_f32_e32 v22, v25, v41
	v_fma_f32 v57, v57, 2.0, -v69
	s_delay_alu instid0(VALU_DEP_2) | instskip(NEXT) | instid1(VALU_DEP_1)
	v_fma_f32 v25, v25, 2.0, -v22
	v_dual_sub_f32 v19, v23, v25 :: v_dual_sub_f32 v74, v8, v22
	s_wait_alu 0xf1ff
	v_cndmask_b32_e64 v22, 0, 0xd80, s0
	s_delay_alu instid0(VALU_DEP_2)
	v_fma_f32 v7, v23, 2.0, -v19
	v_lshlrev_b32_e32 v23, 2, v87
	v_fma_f32 v75, v8, 2.0, -v74
	v_mul_u32_u24_e32 v8, 0xd80, v88
	v_add_f32_e32 v9, v18, v9
	v_fma_f32 v21, v21, 2.0, -v14
	v_add3_u32 v77, 0, v22, v23
	ds_store_2addr_b32 v0, v27, v15 offset1:216
	ds_store_2addr_b32 v76, v48, v47 offset0:16 offset1:232
	ds_store_2addr_b32 v77, v26, v49 offset1:216
	v_lshlrev_b32_e32 v15, 2, v89
	v_add_nc_u32_e32 v47, 0x680, v77
	v_add_nc_u32_e32 v48, 0xe80, v39
	v_dual_add_f32 v10, v20, v10 :: v_dual_add_nc_u32 v49, 0x1500, v39
	v_fma_f32 v18, v18, 2.0, -v9
	ds_store_2addr_b32 v47, v62, v56 offset0:16 offset1:232
	v_add3_u32 v56, 0, v8, v15
	v_lshl_add_u32 v8, v90, 2, 0
	ds_store_2addr_b32 v48, v52, v11 offset0:8 offset1:224
	v_add_nc_u32_e32 v52, 0x1b00, v5
	v_add_nc_u32_e32 v5, 0x2180, v5
	ds_store_2addr_b32 v49, v51, v17 offset0:24 offset1:240
	v_add_nc_u32_e32 v51, 0x680, v56
	v_fma_f32 v20, v20, 2.0, -v10
	v_add_nc_u32_e32 v62, 0x2800, v8
	v_add_nc_u32_e32 v78, 0x2f00, v8
	ds_store_2addr_b32 v52, v13, v12 offset1:216
	ds_store_2addr_b32 v5, v28, v16 offset0:16 offset1:232
	ds_store_2addr_b32 v56, v21, v18 offset1:216
	ds_store_2addr_b32 v51, v14, v9 offset0:16 offset1:232
	ds_store_2addr_b32 v62, v7, v20 offset0:32 offset1:248
	;; [unrolled: 1-line block ×3, first 2 shown]
	global_wb scope:SCOPE_SE
	s_wait_dscnt 0x0
	s_barrier_signal -1
	s_barrier_wait -1
	global_inv scope:SCOPE_SE
	ds_load_2addr_b32 v[7:8], v0 offset1:144
	ds_load_2addr_b32 v[15:16], v32 offset0:96 offset1:240
	ds_load_2addr_b32 v[11:12], v31 offset0:64 offset1:208
	ds_load_2addr_b32 v[13:14], v30 offset0:32 offset1:176
	ds_load_2addr_b32 v[9:10], v29 offset0:32 offset1:176
	ds_load_2addr_b32 v[23:24], v34 offset1:144
	ds_load_2addr_b32 v[21:22], v37 offset0:96 offset1:240
	ds_load_2addr_b32 v[17:18], v33 offset0:64 offset1:208
	;; [unrolled: 1-line block ×3, first 2 shown]
	ds_load_2addr_b32 v[25:26], v35 offset1:144
	ds_load_2addr_b32 v[19:20], v38 offset0:96 offset1:240
	ds_load_b32 v40, v0 offset:2304
	ds_load_b32 v41, v39 offset:2880
	global_wb scope:SCOPE_SE
	s_wait_dscnt 0x0
	s_barrier_signal -1
	s_barrier_wait -1
	global_inv scope:SCOPE_SE
	ds_store_2addr_b32 v0, v64, v46 offset1:216
	ds_store_2addr_b32 v76, v45, v44 offset0:16 offset1:232
	ds_store_2addr_b32 v77, v65, v50 offset1:216
	ds_store_2addr_b32 v47, v63, v60 offset0:16 offset1:232
	ds_store_2addr_b32 v48, v61, v67 offset0:8 offset1:224
	;; [unrolled: 1-line block ×3, first 2 shown]
	ds_store_2addr_b32 v52, v58, v59 offset1:216
	ds_store_2addr_b32 v5, v68, v53 offset0:16 offset1:232
	ds_store_2addr_b32 v56, v57, v72 offset1:216
	ds_store_2addr_b32 v51, v69, v70 offset0:16 offset1:232
	ds_store_2addr_b32 v62, v73, v75 offset0:32 offset1:248
	;; [unrolled: 1-line block ×3, first 2 shown]
	global_wb scope:SCOPE_SE
	s_wait_dscnt 0x0
	s_barrier_signal -1
	s_barrier_wait -1
	global_inv scope:SCOPE_SE
	s_and_saveexec_b32 s0, vcc_lo
	s_cbranch_execz .LBB0_15
; %bb.14:
	v_mad_u32_u24 v5, v42, 3, 0xfffffe50
	v_mul_u32_u24_e32 v44, 3, v42
	v_add_co_u32 v71, s0, s8, v43
	s_wait_alu 0xf1fe
	v_add_co_ci_u32_e64 v72, null, s9, 0, s0
	v_lshlrev_b64_e32 v[48:49], 3, v[5:6]
	v_mad_u32_u24 v5, v42, 3, 0xfffffca0
	v_lshlrev_b32_e32 v73, 3, v44
	v_mul_lo_u32 v85, s2, v4
	v_lshlrev_b64_e32 v[1:2], 3, v[1:2]
	v_add_co_u32 v52, vcc_lo, s8, v48
	v_lshlrev_b64_e32 v[55:56], 3, v[5:6]
	v_mad_u32_u24 v5, v42, 3, 0xfffffaf0
	global_load_b128 v[44:47], v73, s[8:9] offset:6864
	s_wait_alu 0xfffd
	v_add_co_ci_u32_e32 v53, vcc_lo, s9, v49, vcc_lo
	v_lshlrev_b64_e32 v[59:60], 3, v[5:6]
	v_add_co_u32 v67, vcc_lo, s8, v55
	global_load_b128 v[48:51], v[52:53], off offset:6864
	s_wait_alu 0xfffd
	v_add_co_ci_u32_e32 v68, vcc_lo, s9, v56, vcc_lo
	v_add_co_u32 v69, vcc_lo, s8, v59
	s_wait_alu 0xfffd
	v_add_co_ci_u32_e32 v70, vcc_lo, s9, v60, vcc_lo
	global_load_b128 v[55:58], v[67:68], off offset:6864
	v_mad_u32_u24 v5, v42, 3, 0xfffff940
	s_clause 0x6
	global_load_b128 v[59:62], v[69:70], off offset:6864
	global_load_b128 v[63:66], v[71:72], off offset:6864
	global_load_b64 v[73:74], v73, s[8:9] offset:6880
	global_load_b64 v[52:53], v[52:53], off offset:6880
	global_load_b64 v[75:76], v[67:68], off offset:6880
	global_load_b64 v[77:78], v[69:70], off offset:6880
	global_load_b64 v[71:72], v[71:72], off offset:6880
	v_lshlrev_b64_e32 v[42:43], 3, v[5:6]
	v_mul_lo_u32 v5, s3, v3
	v_mad_co_u64_u32 v[3:4], null, s2, v3, 0
	s_delay_alu instid0(VALU_DEP_3) | instskip(SKIP_1) | instid1(VALU_DEP_4)
	v_add_co_u32 v42, vcc_lo, s8, v42
	s_wait_alu 0xfffd
	v_add_co_ci_u32_e32 v43, vcc_lo, s9, v43, vcc_lo
	s_clause 0x1
	global_load_b128 v[67:70], v[42:43], off offset:6864
	global_load_b64 v[42:43], v[42:43], off offset:6880
	ds_load_2addr_b32 v[79:80], v36 offset0:32 offset1:176
	ds_load_2addr_b32 v[35:36], v35 offset1:144
	ds_load_2addr_b32 v[81:82], v38 offset0:96 offset1:240
	ds_load_2addr_b32 v[37:38], v37 offset0:96 offset1:240
	ds_load_2addr_b32 v[83:84], v34 offset1:144
	v_add3_u32 v4, v4, v85, v5
	s_delay_alu instid0(VALU_DEP_1)
	v_lshlrev_b64_e32 v[3:4], 3, v[3:4]
	s_wait_loadcnt 0xb
	v_mul_f32_e32 v34, v26, v47
	s_wait_dscnt 0x3
	v_dual_mul_f32 v86, v45, v80 :: v_dual_mul_f32 v87, v36, v47
	v_add_nc_u32_e32 v47, 0x90, v54
	v_mul_f32_e32 v45, v28, v45
	v_fma_f32 v88, v46, v36, -v34
	s_delay_alu instid0(VALU_DEP_4)
	v_dual_fmac_f32 v86, v28, v44 :: v_dual_fmac_f32 v87, v26, v46
	s_wait_loadcnt 0xa
	v_mul_f32_e32 v26, v25, v51
	v_lshrrev_b32_e32 v28, 5, v47
	v_mul_f32_e32 v89, v49, v79
	v_mul_f32_e32 v91, v35, v51
	v_fma_f32 v80, v44, v80, -v45
	v_fma_f32 v90, v50, v35, -v26
	v_mul_hi_u32 v26, 0x97b425f, v28
	v_dual_fmac_f32 v89, v27, v48 :: v_dual_add_nc_u32 v28, 0x120, v54
	s_wait_loadcnt_dscnt 0x901
	v_dual_mul_f32 v92, v38, v58 :: v_dual_mul_f32 v27, v27, v49
	s_wait_loadcnt_dscnt 0x800
	v_dual_mul_f32 v96, v60, v83 :: v_dual_add_nc_u32 v35, 0x1b0, v54
	ds_load_2addr_b32 v[33:34], v33 offset0:64 offset1:208
	ds_load_2addr_b32 v[44:45], v31 offset0:64 offset1:208
	v_mul_u32_u24_e32 v36, 0x360, v26
	v_fma_f32 v79, v48, v79, -v27
	v_lshrrev_b32_e32 v27, 5, v28
	v_lshrrev_b32_e32 v46, 5, v35
	ds_load_2addr_b32 v[31:32], v32 offset0:96 offset1:240
	v_sub_nc_u32_e32 v5, v47, v36
	v_dual_mul_f32 v85, v56, v84 :: v_dual_fmac_f32 v96, v23, v59
	v_mul_hi_u32 v48, 0x97b425f, v27
	v_mul_hi_u32 v49, 0x97b425f, v46
	s_delay_alu instid0(VALU_DEP_4)
	v_mad_u32_u24 v5, 0xd80, v26, v5
	v_mul_f32_e32 v27, v22, v58
	v_dual_fmac_f32 v91, v25, v50 :: v_dual_fmac_f32 v92, v22, v57
	v_mul_f32_e32 v36, v24, v56
	v_fmac_f32_e32 v85, v24, v55
	v_mul_u32_u24_e32 v22, 0x360, v48
	v_mul_u32_u24_e32 v24, 0x360, v49
	v_add_nc_u32_e32 v26, 0x6c0, v5
	v_fma_f32 v93, v57, v38, -v27
	v_add_co_u32 v38, vcc_lo, s6, v3
	v_mov_b32_e32 v25, v6
	s_wait_alu 0xfffd
	v_add_co_ci_u32_e32 v46, vcc_lo, s7, v4, vcc_lo
	v_sub_nc_u32_e32 v22, v28, v22
	v_sub_nc_u32_e32 v28, v35, v24
	v_add_nc_u32_e32 v24, 0x360, v5
	v_lshlrev_b64_e32 v[3:4], 3, v[5:6]
	v_add_nc_u32_e32 v5, 0xa20, v5
	v_add_co_u32 v94, vcc_lo, v38, v1
	s_wait_alu 0xfffd
	v_add_co_ci_u32_e32 v95, vcc_lo, v46, v2, vcc_lo
	v_lshlrev_b64_e32 v[1:2], 3, v[24:25]
	v_lshlrev_b64_e32 v[24:25], 3, v[5:6]
	v_mad_u32_u24 v5, 0xd80, v48, v22
	s_wait_loadcnt_dscnt 0x700
	v_dual_mul_f32 v22, v21, v62 :: v_dual_mul_f32 v51, v64, v31
	v_mul_f32_e32 v38, v15, v64
	s_wait_loadcnt 0x4
	v_mul_f32_e32 v64, v76, v34
	v_mul_f32_e32 v97, v37, v62
	v_fma_f32 v98, v61, v37, -v22
	v_mul_f32_e32 v37, v23, v60
	v_add_nc_u32_e32 v35, 0x360, v5
	v_lshlrev_b64_e32 v[22:23], 3, v[5:6]
	v_dual_fmac_f32 v64, v18, v75 :: v_dual_fmac_f32 v97, v21, v61
	s_delay_alu instid0(VALU_DEP_4)
	v_fma_f32 v83, v59, v83, -v37
	v_add_nc_u32_e32 v37, 0x6c0, v5
	v_add_nc_u32_e32 v5, 0xa20, v5
	;; [unrolled: 1-line block ×3, first 2 shown]
	v_fma_f32 v84, v55, v84, -v36
	v_mul_f32_e32 v55, v44, v66
	v_mul_f32_e32 v61, v53, v81
	v_lshlrev_b64_e32 v[46:47], 3, v[5:6]
	v_mad_u32_u24 v5, 0xd80, v49, v28
	ds_load_2addr_b32 v[48:49], v0 offset1:144
	v_mul_f32_e32 v21, v11, v66
	v_mov_b32_e32 v27, v6
	v_lshrrev_b32_e32 v36, 5, v50
	v_fmac_f32_e32 v55, v11, v65
	v_fmac_f32_e32 v61, v19, v52
	v_fma_f32 v44, v65, v44, -v21
	v_mul_f32_e32 v21, v20, v74
	v_mul_f32_e32 v19, v19, v53
	v_add_co_u32 v3, vcc_lo, v94, v3
	v_mul_hi_u32 v56, 0x97b425f, v36
	v_mov_b32_e32 v36, v6
	v_lshlrev_b64_e32 v[26:27], 3, v[26:27]
	v_fma_f32 v60, v73, v82, -v21
	v_fma_f32 v62, v52, v81, -v19
	v_sub_f32_e32 v52, v7, v55
	s_wait_alu 0xfffd
	v_add_co_ci_u32_e32 v4, vcc_lo, v95, v4, vcc_lo
	v_add_co_u32 v1, vcc_lo, v94, v1
	s_wait_dscnt 0x0
	v_dual_sub_f32 v44, v48, v44 :: v_dual_fmac_f32 v51, v15, v63
	v_mul_f32_e32 v15, v74, v82
	s_wait_alu 0xfffd
	v_add_co_ci_u32_e32 v2, vcc_lo, v95, v2, vcc_lo
	v_add_co_u32 v26, vcc_lo, v94, v26
	s_delay_alu instid0(VALU_DEP_3)
	v_fmac_f32_e32 v15, v20, v73
	ds_load_2addr_b32 v[20:21], v30 offset0:32 offset1:176
	v_fma_f32 v11, v63, v31, -v38
	v_mov_b32_e32 v38, v6
	s_wait_alu 0xfffd
	v_add_co_ci_u32_e32 v27, vcc_lo, v95, v27, vcc_lo
	v_lshrrev_b32_e32 v28, 5, v54
	v_add_co_u32 v24, vcc_lo, v94, v24
	v_lshlrev_b64_e32 v[30:31], 3, v[35:36]
	s_wait_alu 0xfffd
	v_add_co_ci_u32_e32 v25, vcc_lo, v95, v25, vcc_lo
	v_lshlrev_b64_e32 v[35:36], 3, v[37:38]
	v_add_co_u32 v22, vcc_lo, v94, v22
	v_mul_hi_u32 v53, 0x97b425f, v28
	s_wait_loadcnt 0x3
	v_mul_f32_e32 v28, v17, v78
	s_wait_alu 0xfffd
	v_add_co_ci_u32_e32 v23, vcc_lo, v95, v23, vcc_lo
	v_mul_f32_e32 v19, v18, v76
	v_add_co_u32 v30, vcc_lo, v94, v30
	s_wait_alu 0xfffd
	v_add_co_ci_u32_e32 v31, vcc_lo, v95, v31, vcc_lo
	v_mul_f32_e32 v65, v78, v33
	v_fma_f32 v73, v77, v33, -v28
	v_add_co_u32 v33, vcc_lo, v94, v35
	v_fma_f32 v66, v75, v34, -v19
	s_wait_alu 0xfffd
	v_add_co_ci_u32_e32 v34, vcc_lo, v95, v36, vcc_lo
	v_add_co_u32 v35, vcc_lo, v94, v46
	s_wait_loadcnt_dscnt 0x200
	v_mul_f32_e32 v46, v72, v20
	v_mul_f32_e32 v37, v13, v72
	v_lshlrev_b64_e32 v[18:19], 3, v[5:6]
	v_mul_u32_u24_e32 v57, 0x360, v56
	s_wait_alu 0xfffd
	v_add_co_ci_u32_e32 v36, vcc_lo, v95, v47, vcc_lo
	v_fmac_f32_e32 v46, v13, v71
	v_fma_f32 v13, v71, v20, -v37
	v_sub_nc_u32_e32 v47, v50, v57
	v_mul_u32_u24_e32 v50, 0x360, v53
	v_fma_f32 v7, v7, 2.0, -v52
	v_sub_f32_e32 v20, v51, v46
	v_dual_sub_f32 v13, v11, v13 :: v_dual_sub_f32 v66, v84, v66
	v_add_co_u32 v46, vcc_lo, v94, v18
	v_fma_f32 v18, v48, 2.0, -v44
	s_delay_alu instid0(VALU_DEP_4) | instskip(SKIP_3) | instid1(VALU_DEP_4)
	v_fma_f32 v48, v51, 2.0, -v20
	v_dual_mov_b32 v59, v6 :: v_dual_sub_f32 v82, v9, v97
	v_fma_f32 v11, v11, 2.0, -v13
	v_sub_nc_u32_e32 v53, v54, v50
	v_sub_f32_e32 v50, v7, v48
	v_add_nc_u32_e32 v28, 0x6c0, v5
	v_sub_f32_e32 v72, v79, v62
	v_fma_f32 v9, v9, 2.0, -v82
	v_sub_f32_e32 v71, v40, v91
	v_fmac_f32_e32 v65, v17, v77
	v_dual_sub_f32 v64, v85, v64 :: v_dual_add_nc_u32 v17, 0x360, v5
	v_dual_sub_f32 v74, v10, v92 :: v_dual_add_nc_u32 v5, 0xa20, v5
	v_sub_f32_e32 v51, v18, v11
	v_lshlrev_b32_e32 v11, 3, v53
	v_fma_f32 v55, v7, 2.0, -v50
	v_add_nc_u32_e32 v7, 0x2d0, v54
	v_lshlrev_b64_e32 v[37:38], 3, v[5:6]
	v_mad_u32_u24 v5, 0xd80, v56, v47
	s_wait_alu 0xfffd
	v_add_co_ci_u32_e32 v47, vcc_lo, v95, v19, vcc_lo
	v_add_co_u32 v57, vcc_lo, v94, v11
	v_lshrrev_b32_e32 v11, 5, v7
	s_wait_alu 0xfffd
	v_add_co_ci_u32_e32 v58, vcc_lo, 0, v95, vcc_lo
	s_wait_loadcnt 0x1
	v_mul_f32_e32 v75, v68, v32
	v_mul_f32_e32 v68, v16, v68
	v_fma_f32 v56, v18, 2.0, -v51
	v_mul_hi_u32 v78, 0x97b425f, v11
	v_add_f32_e32 v19, v52, v13
	s_wait_loadcnt 0x0
	v_dual_sub_f32 v20, v44, v20 :: v_dual_mul_f32 v77, v43, v21
	global_store_b64 v[57:58], v[55:56], off
	ds_load_b32 v13, v39 offset:2880
	ds_load_b32 v0, v0 offset:2304
	v_fma_f32 v52, v52, 2.0, -v19
	v_fma_f32 v53, v44, 2.0, -v20
	v_mul_u32_u24_e32 v11, 0x360, v78
	ds_load_2addr_b32 v[54:55], v29 offset0:32 offset1:176
	v_sub_f32_e32 v39, v80, v60
	v_fmac_f32_e32 v75, v16, v67
	v_fmac_f32_e32 v77, v14, v42
	v_sub_nc_u32_e32 v81, v7, v11
	v_sub_f32_e32 v11, v86, v15
	v_sub_f32_e32 v73, v83, v73
	v_sub_f32_e32 v15, v41, v87
	s_clause 0x2
	global_store_b64 v[57:58], v[52:53], off offset:6912
	global_store_b64 v[57:58], v[50:51], off offset:13824
	;; [unrolled: 1-line block ×3, first 2 shown]
	v_dual_mov_b32 v52, v6 :: v_dual_add_nc_u32 v51, 0x360, v5
	v_add_nc_u32_e32 v58, 0x6c0, v5
	v_add_f32_e32 v56, v15, v39
	v_fma_f32 v41, v41, 2.0, -v15
	s_wait_dscnt 0x1
	v_sub_f32_e32 v44, v0, v90
	v_lshlrev_b64_e32 v[50:51], 3, v[51:52]
	v_lshlrev_b64_e32 v[52:53], 3, v[58:59]
	v_fma_f32 v58, v15, 2.0, -v56
	v_mul_f32_e32 v15, v12, v70
	v_mul_f32_e32 v70, v45, v70
	v_sub_f32_e32 v7, v13, v88
	v_sub_f32_e32 v48, v89, v61
	v_fma_f32 v0, v0, 2.0, -v44
	v_fma_f32 v39, v80, 2.0, -v39
	s_delay_alu instid0(VALU_DEP_4)
	v_dual_fmac_f32 v70, v12, v69 :: v_dual_sub_f32 v57, v7, v11
	v_fma_f32 v11, v86, 2.0, -v11
	v_fma_f32 v13, v13, 2.0, -v7
	v_sub_f32_e32 v63, v44, v48
	v_add_f32_e32 v62, v71, v72
	v_fma_f32 v59, v7, 2.0, -v57
	v_sub_f32_e32 v60, v41, v11
	v_fma_f32 v7, v79, 2.0, -v72
	v_fma_f32 v11, v89, 2.0, -v48
	s_wait_dscnt 0x0
	v_dual_sub_f32 v48, v55, v93 :: v_dual_mov_b32 v29, v6
	v_sub_f32_e32 v80, v96, v65
	v_fma_f32 v76, v69, v45, -v15
	v_sub_f32_e32 v45, v0, v7
	s_delay_alu instid0(VALU_DEP_4) | instskip(SKIP_3) | instid1(VALU_DEP_4)
	v_dual_mul_f32 v7, v14, v43 :: v_dual_sub_f32 v14, v48, v64
	v_fma_f32 v43, v84, 2.0, -v66
	v_fma_f32 v55, v55, 2.0, -v48
	v_fma_f32 v12, v67, v32, -v68
	v_fma_f32 v7, v42, v21, -v7
	v_fma_f32 v42, v48, 2.0, -v14
	v_fma_f32 v32, v96, 2.0, -v80
	v_sub_f32_e32 v65, v55, v43
	v_dual_sub_f32 v43, v49, v76 :: v_dual_sub_f32 v48, v75, v77
	v_sub_f32_e32 v61, v13, v39
	v_lshlrev_b64_e32 v[19:20], 3, v[5:6]
	v_add_nc_u32_e32 v5, 0xa20, v5
	v_fma_f32 v64, v85, 2.0, -v64
	v_fma_f32 v68, v75, 2.0, -v48
	v_sub_f32_e32 v69, v43, v48
	v_sub_f32_e32 v48, v9, v32
	v_fma_f32 v72, v40, 2.0, -v71
	v_fma_f32 v40, v44, 2.0, -v63
	;; [unrolled: 1-line block ×4, first 2 shown]
	s_delay_alu instid0(VALU_DEP_4) | instskip(SKIP_3) | instid1(VALU_DEP_4)
	v_dual_add_f32 v13, v74, v66 :: v_dual_sub_f32 v44, v72, v11
	v_fma_f32 v71, v10, 2.0, -v74
	v_dual_sub_f32 v7, v12, v7 :: v_dual_mov_b32 v18, v6
	v_sub_f32_e32 v79, v54, v98
	v_fma_f32 v10, v72, 2.0, -v44
	v_sub_f32_e32 v72, v8, v70
	v_fma_f32 v15, v41, 2.0, -v60
	v_fma_f32 v41, v74, 2.0, -v13
	v_sub_f32_e32 v64, v71, v64
	v_fma_f32 v74, v49, 2.0, -v43
	v_fma_f32 v12, v12, 2.0, -v7
	;; [unrolled: 1-line block ×3, first 2 shown]
	v_lshlrev_b64_e32 v[17:18], 3, v[17:18]
	v_lshlrev_b64_e32 v[28:29], 3, v[28:29]
	v_fma_f32 v11, v0, 2.0, -v45
	v_fma_f32 v0, v54, 2.0, -v79
	v_fma_f32 v21, v83, 2.0, -v73
	v_fma_f32 v54, v71, 2.0, -v64
	v_sub_f32_e32 v71, v74, v12
	v_sub_f32_e32 v70, v76, v68
	v_add_f32_e32 v68, v72, v7
	v_add_co_u32 v17, vcc_lo, v94, v17
	s_wait_alu 0xfffd
	v_add_co_ci_u32_e32 v18, vcc_lo, v95, v18, vcc_lo
	v_sub_f32_e32 v49, v0, v21
	v_add_co_u32 v28, vcc_lo, v94, v28
	v_dual_sub_f32 v67, v79, v80 :: v_dual_add_f32 v66, v82, v73
	v_fma_f32 v75, v74, 2.0, -v71
	v_fma_f32 v74, v76, 2.0, -v70
	;; [unrolled: 1-line block ×4, first 2 shown]
	s_wait_alu 0xfffd
	v_add_co_ci_u32_e32 v29, vcc_lo, v95, v29, vcc_lo
	v_add_co_u32 v37, vcc_lo, v94, v37
	v_fma_f32 v77, v0, 2.0, -v49
	v_fma_f32 v76, v9, 2.0, -v48
	s_wait_alu 0xfffd
	v_add_co_ci_u32_e32 v38, vcc_lo, v95, v38, vcc_lo
	v_fma_f32 v55, v55, 2.0, -v65
	v_fma_f32 v8, v79, 2.0, -v67
	;; [unrolled: 1-line block ×3, first 2 shown]
	s_clause 0xb
	global_store_b64 v[3:4], v[74:75], off
	global_store_b64 v[1:2], v[72:73], off
	;; [unrolled: 1-line block ×12, first 2 shown]
	v_lshlrev_b64_e32 v[2:3], 3, v[5:6]
	v_mad_u32_u24 v5, 0xd80, v78, v81
	v_add_co_u32 v19, vcc_lo, v94, v19
	s_wait_alu 0xfffd
	v_add_co_ci_u32_e32 v20, vcc_lo, v95, v20, vcc_lo
	v_add_co_u32 v0, vcc_lo, v94, v50
	v_dual_mov_b32 v18, v6 :: v_dual_add_nc_u32 v17, 0x360, v5
	s_wait_alu 0xfffd
	v_add_co_ci_u32_e32 v1, vcc_lo, v95, v51, vcc_lo
	v_add_co_u32 v7, vcc_lo, v94, v52
	v_lshlrev_b64_e32 v[12:13], 3, v[5:6]
	v_dual_mov_b32 v22, v6 :: v_dual_add_nc_u32 v21, 0x6c0, v5
	s_wait_alu 0xfffd
	v_add_co_ci_u32_e32 v8, vcc_lo, v95, v53, vcc_lo
	v_add_co_u32 v2, vcc_lo, v94, v2
	v_lshlrev_b64_e32 v[17:18], 3, v[17:18]
	v_add_nc_u32_e32 v5, 0xa20, v5
	s_wait_alu 0xfffd
	v_add_co_ci_u32_e32 v3, vcc_lo, v95, v3, vcc_lo
	v_add_co_u32 v12, vcc_lo, v94, v12
	v_lshlrev_b64_e32 v[21:22], 3, v[21:22]
	s_wait_alu 0xfffd
	v_add_co_ci_u32_e32 v13, vcc_lo, v95, v13, vcc_lo
	v_add_co_u32 v17, vcc_lo, v94, v17
	v_lshlrev_b64_e32 v[4:5], 3, v[5:6]
	s_wait_alu 0xfffd
	v_add_co_ci_u32_e32 v18, vcc_lo, v95, v18, vcc_lo
	v_add_co_u32 v21, vcc_lo, v94, v21
	s_wait_alu 0xfffd
	v_add_co_ci_u32_e32 v22, vcc_lo, v95, v22, vcc_lo
	v_add_co_u32 v4, vcc_lo, v94, v4
	s_wait_alu 0xfffd
	v_add_co_ci_u32_e32 v5, vcc_lo, v95, v5, vcc_lo
	s_clause 0x7
	global_store_b64 v[19:20], v[10:11], off
	global_store_b64 v[0:1], v[39:40], off
	;; [unrolled: 1-line block ×8, first 2 shown]
.LBB0_15:
	s_nop 0
	s_sendmsg sendmsg(MSG_DEALLOC_VGPRS)
	s_endpgm
	.section	.rodata,"a",@progbits
	.p2align	6, 0x0
	.amdhsa_kernel fft_rtc_back_len3456_factors_6_6_6_4_4_wgs_144_tpt_144_halfLds_sp_op_CI_CI_unitstride_sbrr_dirReg
		.amdhsa_group_segment_fixed_size 0
		.amdhsa_private_segment_fixed_size 0
		.amdhsa_kernarg_size 104
		.amdhsa_user_sgpr_count 2
		.amdhsa_user_sgpr_dispatch_ptr 0
		.amdhsa_user_sgpr_queue_ptr 0
		.amdhsa_user_sgpr_kernarg_segment_ptr 1
		.amdhsa_user_sgpr_dispatch_id 0
		.amdhsa_user_sgpr_private_segment_size 0
		.amdhsa_wavefront_size32 1
		.amdhsa_uses_dynamic_stack 0
		.amdhsa_enable_private_segment 0
		.amdhsa_system_sgpr_workgroup_id_x 1
		.amdhsa_system_sgpr_workgroup_id_y 0
		.amdhsa_system_sgpr_workgroup_id_z 0
		.amdhsa_system_sgpr_workgroup_info 0
		.amdhsa_system_vgpr_workitem_id 0
		.amdhsa_next_free_vgpr 99
		.amdhsa_next_free_sgpr 39
		.amdhsa_reserve_vcc 1
		.amdhsa_float_round_mode_32 0
		.amdhsa_float_round_mode_16_64 0
		.amdhsa_float_denorm_mode_32 3
		.amdhsa_float_denorm_mode_16_64 3
		.amdhsa_fp16_overflow 0
		.amdhsa_workgroup_processor_mode 1
		.amdhsa_memory_ordered 1
		.amdhsa_forward_progress 0
		.amdhsa_round_robin_scheduling 0
		.amdhsa_exception_fp_ieee_invalid_op 0
		.amdhsa_exception_fp_denorm_src 0
		.amdhsa_exception_fp_ieee_div_zero 0
		.amdhsa_exception_fp_ieee_overflow 0
		.amdhsa_exception_fp_ieee_underflow 0
		.amdhsa_exception_fp_ieee_inexact 0
		.amdhsa_exception_int_div_zero 0
	.end_amdhsa_kernel
	.text
.Lfunc_end0:
	.size	fft_rtc_back_len3456_factors_6_6_6_4_4_wgs_144_tpt_144_halfLds_sp_op_CI_CI_unitstride_sbrr_dirReg, .Lfunc_end0-fft_rtc_back_len3456_factors_6_6_6_4_4_wgs_144_tpt_144_halfLds_sp_op_CI_CI_unitstride_sbrr_dirReg
                                        ; -- End function
	.section	.AMDGPU.csdata,"",@progbits
; Kernel info:
; codeLenInByte = 13352
; NumSgprs: 41
; NumVgprs: 99
; ScratchSize: 0
; MemoryBound: 0
; FloatMode: 240
; IeeeMode: 1
; LDSByteSize: 0 bytes/workgroup (compile time only)
; SGPRBlocks: 5
; VGPRBlocks: 12
; NumSGPRsForWavesPerEU: 41
; NumVGPRsForWavesPerEU: 99
; Occupancy: 12
; WaveLimiterHint : 1
; COMPUTE_PGM_RSRC2:SCRATCH_EN: 0
; COMPUTE_PGM_RSRC2:USER_SGPR: 2
; COMPUTE_PGM_RSRC2:TRAP_HANDLER: 0
; COMPUTE_PGM_RSRC2:TGID_X_EN: 1
; COMPUTE_PGM_RSRC2:TGID_Y_EN: 0
; COMPUTE_PGM_RSRC2:TGID_Z_EN: 0
; COMPUTE_PGM_RSRC2:TIDIG_COMP_CNT: 0
	.text
	.p2alignl 7, 3214868480
	.fill 96, 4, 3214868480
	.type	__hip_cuid_e3ac29c1845e2202,@object ; @__hip_cuid_e3ac29c1845e2202
	.section	.bss,"aw",@nobits
	.globl	__hip_cuid_e3ac29c1845e2202
__hip_cuid_e3ac29c1845e2202:
	.byte	0                               ; 0x0
	.size	__hip_cuid_e3ac29c1845e2202, 1

	.ident	"AMD clang version 19.0.0git (https://github.com/RadeonOpenCompute/llvm-project roc-6.4.0 25133 c7fe45cf4b819c5991fe208aaa96edf142730f1d)"
	.section	".note.GNU-stack","",@progbits
	.addrsig
	.addrsig_sym __hip_cuid_e3ac29c1845e2202
	.amdgpu_metadata
---
amdhsa.kernels:
  - .args:
      - .actual_access:  read_only
        .address_space:  global
        .offset:         0
        .size:           8
        .value_kind:     global_buffer
      - .offset:         8
        .size:           8
        .value_kind:     by_value
      - .actual_access:  read_only
        .address_space:  global
        .offset:         16
        .size:           8
        .value_kind:     global_buffer
      - .actual_access:  read_only
        .address_space:  global
        .offset:         24
        .size:           8
        .value_kind:     global_buffer
      - .actual_access:  read_only
        .address_space:  global
        .offset:         32
        .size:           8
        .value_kind:     global_buffer
      - .offset:         40
        .size:           8
        .value_kind:     by_value
      - .actual_access:  read_only
        .address_space:  global
        .offset:         48
        .size:           8
        .value_kind:     global_buffer
      - .actual_access:  read_only
        .address_space:  global
        .offset:         56
        .size:           8
        .value_kind:     global_buffer
      - .offset:         64
        .size:           4
        .value_kind:     by_value
      - .actual_access:  read_only
        .address_space:  global
        .offset:         72
        .size:           8
        .value_kind:     global_buffer
      - .actual_access:  read_only
        .address_space:  global
        .offset:         80
        .size:           8
        .value_kind:     global_buffer
      - .actual_access:  read_only
        .address_space:  global
        .offset:         88
        .size:           8
        .value_kind:     global_buffer
      - .actual_access:  write_only
        .address_space:  global
        .offset:         96
        .size:           8
        .value_kind:     global_buffer
    .group_segment_fixed_size: 0
    .kernarg_segment_align: 8
    .kernarg_segment_size: 104
    .language:       OpenCL C
    .language_version:
      - 2
      - 0
    .max_flat_workgroup_size: 144
    .name:           fft_rtc_back_len3456_factors_6_6_6_4_4_wgs_144_tpt_144_halfLds_sp_op_CI_CI_unitstride_sbrr_dirReg
    .private_segment_fixed_size: 0
    .sgpr_count:     41
    .sgpr_spill_count: 0
    .symbol:         fft_rtc_back_len3456_factors_6_6_6_4_4_wgs_144_tpt_144_halfLds_sp_op_CI_CI_unitstride_sbrr_dirReg.kd
    .uniform_work_group_size: 1
    .uses_dynamic_stack: false
    .vgpr_count:     99
    .vgpr_spill_count: 0
    .wavefront_size: 32
    .workgroup_processor_mode: 1
amdhsa.target:   amdgcn-amd-amdhsa--gfx1201
amdhsa.version:
  - 1
  - 2
...

	.end_amdgpu_metadata
